;; amdgpu-corpus repo=zjin-lcf/HeCBench kind=compiled arch=gfx906 opt=O3
	.amdgcn_target "amdgcn-amd-amdhsa--gfx906"
	.amdhsa_code_object_version 6
	.section	.text._Z34scaled_masked_softmax_warp_forwardI6__halfS0_fLi0EEvPT0_PKT_PKhT1_iii,"axG",@progbits,_Z34scaled_masked_softmax_warp_forwardI6__halfS0_fLi0EEvPT0_PKT_PKhT1_iii,comdat
	.protected	_Z34scaled_masked_softmax_warp_forwardI6__halfS0_fLi0EEvPT0_PKT_PKhT1_iii ; -- Begin function _Z34scaled_masked_softmax_warp_forwardI6__halfS0_fLi0EEvPT0_PKT_PKhT1_iii
	.globl	_Z34scaled_masked_softmax_warp_forwardI6__halfS0_fLi0EEvPT0_PKT_PKhT1_iii
	.p2align	8
	.type	_Z34scaled_masked_softmax_warp_forwardI6__halfS0_fLi0EEvPT0_PKT_PKhT1_iii,@function
_Z34scaled_masked_softmax_warp_forwardI6__halfS0_fLi0EEvPT0_PKT_PKhT1_iii: ; @_Z34scaled_masked_softmax_warp_forwardI6__halfS0_fLi0EEvPT0_PKT_PKhT1_iii
; %bb.0:
	s_load_dword s2, s[4:5], 0x34
	s_load_dwordx4 s[12:15], s[4:5], 0x18
	s_load_dwordx2 s[0:1], s[4:5], 0x28
	s_waitcnt lgkmcnt(0)
	s_lshr_b32 s3, s2, 16
	s_cmp_eq_u32 s15, 1
	s_mov_b32 s2, s6
	s_cbranch_scc1 .LBB0_2
; %bb.1:
	s_mul_i32 s2, s0, s8
	s_add_i32 s2, s2, s6
.LBB0_2:
	s_mul_i32 s1, s1, s8
	s_add_i32 s1, s1, s7
	s_mul_i32 s0, s0, s1
	s_and_b32 s3, 0xffff, s3
	s_add_i32 s0, s0, s6
	s_mul_i32 s0, s0, s3
	v_add_lshl_u32 v2, s0, v1, 1
	v_sub_u32_e32 v9, s13, v2
	v_cmp_lt_i32_e32 vcc, 0, v9
	s_and_saveexec_b64 s[0:1], vcc
	s_cbranch_execz .LBB0_15
; %bb.3:
	v_mad_u64_u32 v[2:3], s[0:1], v2, s14, v[0:1]
	s_mul_i32 s2, s2, s3
	s_load_dwordx4 s[8:11], s[4:5], 0x0
	s_load_dwordx2 s[0:1], s[4:5], 0x10
	v_add_u32_e32 v4, s2, v1
	v_ashrrev_i32_e32 v3, 31, v2
	v_mul_lo_u32 v4, s14, v4
	v_lshlrev_b64 v[1:2], 1, v[2:3]
	s_waitcnt lgkmcnt(0)
	v_mov_b32_e32 v3, s11
	v_add_co_u32_e32 v5, vcc, s10, v1
	v_addc_co_u32_e32 v6, vcc, v3, v2, vcc
	v_lshl_add_u32 v3, v4, 1, v0
	v_ashrrev_i32_e32 v4, 31, v3
	v_mov_b32_e32 v7, s1
	v_add_co_u32_e32 v3, vcc, s0, v3
	v_addc_co_u32_e32 v4, vcc, v7, v4, vcc
	v_cmp_le_i32_e32 vcc, s14, v0
	v_cmp_gt_i32_e64 s[0:1], s14, v0
	v_mov_b32_e32 v8, 0xff800000
	v_mov_b32_e32 v7, 0
	s_and_saveexec_b64 s[2:3], s[0:1]
	s_cbranch_execz .LBB0_5
; %bb.4:
	global_load_ushort v8, v[5:6], off
	global_load_ubyte v10, v[3:4], off
	v_mov_b32_e32 v11, 0xc61c4000
	s_waitcnt vmcnt(1)
	v_cvt_f32_f16_e32 v8, v8
	s_waitcnt vmcnt(0)
	v_cmp_ne_u16_e64 s[0:1], 1, v10
	v_mul_f32_e32 v8, s12, v8
	v_cndmask_b32_e64 v8, v11, v8, s[0:1]
.LBB0_5:
	s_or_b64 exec, exec, s[2:3]
	v_cmp_eq_u32_e64 s[0:1], 1, v9
	v_cmp_ne_u32_e64 s[2:3], 1, v9
	s_and_saveexec_b64 s[4:5], s[2:3]
	s_xor_b64 s[2:3], exec, s[4:5]
	s_cbranch_execz .LBB0_11
; %bb.6:
	s_and_saveexec_b64 s[4:5], vcc
	s_xor_b64 s[4:5], exec, s[4:5]
                                        ; implicit-def: $vgpr7
; %bb.7:
	v_mov_b32_e32 v7, 0xff800000
                                        ; implicit-def: $vgpr3
                                        ; implicit-def: $vgpr5
; %bb.8:
	s_andn2_saveexec_b64 s[4:5], s[4:5]
	s_cbranch_execz .LBB0_10
; %bb.9:
	s_mov_b32 s15, 0
	s_lshl_b64 s[6:7], s[14:15], 1
	v_mov_b32_e32 v7, s7
	v_add_co_u32_e32 v5, vcc, s6, v5
	v_addc_co_u32_e32 v6, vcc, v6, v7, vcc
	global_load_ushort v5, v[5:6], off
	v_add_co_u32_e32 v3, vcc, s14, v3
	v_addc_co_u32_e32 v4, vcc, 0, v4, vcc
	global_load_ubyte v3, v[3:4], off
	s_waitcnt vmcnt(1)
	v_cvt_f32_f16_e32 v4, v5
	v_mov_b32_e32 v5, 0xc61c4000
	v_mul_f32_e32 v4, s12, v4
	s_waitcnt vmcnt(0)
	v_cmp_eq_u16_e32 vcc, 1, v3
	v_cndmask_b32_e32 v7, v4, v5, vcc
.LBB0_10:
	s_or_b64 exec, exec, s[4:5]
.LBB0_11:
	s_or_b64 exec, exec, s[2:3]
	v_mov_b32_e32 v3, s9
	v_add_co_u32_e32 v1, vcc, s8, v1
	v_addc_co_u32_e32 v2, vcc, v3, v2, vcc
	v_cmp_le_i32_e64 s[2:3], s14, v0
	v_cmp_gt_i32_e32 vcc, s14, v0
	s_and_saveexec_b64 s[4:5], vcc
	s_cbranch_execz .LBB0_13
; %bb.12:
	v_sub_f32_e32 v0, v8, v8
	v_mul_f32_e32 v3, 0x3fb8aa3b, v0
	s_mov_b32 s6, 0x3fb8aa3b
	v_rndne_f32_e32 v4, v3
	v_sub_f32_e32 v5, v3, v4
	v_fma_f32 v3, v0, s6, -v3
	v_fmac_f32_e32 v3, 0x32a5705f, v0
	v_add_f32_e32 v3, v5, v3
	v_exp_f32_e32 v3, v3
	v_cvt_i32_f32_e32 v4, v4
	s_mov_b32 s6, 0xc2ce8ed0
	v_cmp_ngt_f32_e32 vcc, s6, v0
	s_mov_b32 s6, 0x42b17218
	v_ldexp_f32 v3, v3, v4
	v_cndmask_b32_e32 v3, 0, v3, vcc
	v_mov_b32_e32 v4, 0x7f800000
	v_cmp_nlt_f32_e32 vcc, s6, v0
	v_cndmask_b32_e32 v0, v4, v3, vcc
	v_div_scale_f32 v3, vcc, v0, v0, v0
	s_mov_b32 s6, 0xc61c4000
	v_rcp_f32_e32 v4, v3
	v_fma_f32 v5, -v3, v4, 1.0
	v_fmac_f32_e32 v4, v5, v4
	v_mul_f32_e32 v5, v3, v4
	v_fma_f32 v6, -v3, v5, v3
	v_fmac_f32_e32 v5, v6, v4
	v_fma_f32 v3, -v3, v5, v3
	v_div_fmas_f32 v3, v3, v4, v5
	v_cmp_neq_f32_e32 vcc, s6, v8
	v_div_fixup_f32 v0, v3, v0, v0
	v_cvt_f16_f32_e32 v0, v0
	v_cndmask_b32_e32 v0, 0, v0, vcc
	global_store_short v[1:2], v0, off
.LBB0_13:
	s_or_b64 exec, exec, s[4:5]
	s_nor_b64 s[0:1], s[0:1], s[2:3]
	s_and_saveexec_b64 s[2:3], s[0:1]
	s_xor_b64 s[2:3], exec, s[2:3]
	s_cbranch_execz .LBB0_15
; %bb.14:
	v_sub_f32_e32 v0, v7, v7
	v_mul_f32_e32 v3, 0x3fb8aa3b, v0
	s_mov_b32 s0, 0x3fb8aa3b
	v_rndne_f32_e32 v4, v3
	v_sub_f32_e32 v5, v3, v4
	v_fma_f32 v3, v0, s0, -v3
	v_fmac_f32_e32 v3, 0x32a5705f, v0
	v_add_f32_e32 v3, v5, v3
	v_exp_f32_e32 v3, v3
	v_cvt_i32_f32_e32 v4, v4
	s_mov_b32 s0, 0xc2ce8ed0
	v_cmp_ngt_f32_e32 vcc, s0, v0
	s_mov_b32 s0, 0x42b17218
	v_ldexp_f32 v3, v3, v4
	v_cndmask_b32_e32 v3, 0, v3, vcc
	v_mov_b32_e32 v4, 0x7f800000
	v_cmp_nlt_f32_e32 vcc, s0, v0
	v_cndmask_b32_e32 v0, v4, v3, vcc
	v_div_scale_f32 v3, vcc, v0, v0, v0
	s_mov_b32 s15, 0
	s_lshl_b64 s[0:1], s[14:15], 1
	s_mov_b32 s2, 0xc61c4000
	v_rcp_f32_e32 v4, v3
	v_fma_f32 v5, -v3, v4, 1.0
	v_fmac_f32_e32 v4, v5, v4
	v_mul_f32_e32 v5, v3, v4
	v_fma_f32 v6, -v3, v5, v3
	v_fmac_f32_e32 v5, v6, v4
	v_fma_f32 v3, -v3, v5, v3
	v_div_fmas_f32 v3, v3, v4, v5
	v_mov_b32_e32 v4, s1
	v_div_fixup_f32 v0, v3, v0, v0
	v_cvt_f16_f32_e32 v3, v0
	v_add_co_u32_e32 v0, vcc, s0, v1
	v_addc_co_u32_e32 v1, vcc, v2, v4, vcc
	v_cmp_neq_f32_e32 vcc, s2, v7
	v_cndmask_b32_e32 v2, 0, v3, vcc
	global_store_short v[0:1], v2, off
.LBB0_15:
	s_endpgm
	.section	.rodata,"a",@progbits
	.p2align	6, 0x0
	.amdhsa_kernel _Z34scaled_masked_softmax_warp_forwardI6__halfS0_fLi0EEvPT0_PKT_PKhT1_iii
		.amdhsa_group_segment_fixed_size 0
		.amdhsa_private_segment_fixed_size 0
		.amdhsa_kernarg_size 296
		.amdhsa_user_sgpr_count 6
		.amdhsa_user_sgpr_private_segment_buffer 1
		.amdhsa_user_sgpr_dispatch_ptr 0
		.amdhsa_user_sgpr_queue_ptr 0
		.amdhsa_user_sgpr_kernarg_segment_ptr 1
		.amdhsa_user_sgpr_dispatch_id 0
		.amdhsa_user_sgpr_flat_scratch_init 0
		.amdhsa_user_sgpr_private_segment_size 0
		.amdhsa_uses_dynamic_stack 0
		.amdhsa_system_sgpr_private_segment_wavefront_offset 0
		.amdhsa_system_sgpr_workgroup_id_x 1
		.amdhsa_system_sgpr_workgroup_id_y 1
		.amdhsa_system_sgpr_workgroup_id_z 1
		.amdhsa_system_sgpr_workgroup_info 0
		.amdhsa_system_vgpr_workitem_id 1
		.amdhsa_next_free_vgpr 12
		.amdhsa_next_free_sgpr 16
		.amdhsa_reserve_vcc 1
		.amdhsa_reserve_flat_scratch 0
		.amdhsa_float_round_mode_32 0
		.amdhsa_float_round_mode_16_64 0
		.amdhsa_float_denorm_mode_32 3
		.amdhsa_float_denorm_mode_16_64 3
		.amdhsa_dx10_clamp 1
		.amdhsa_ieee_mode 1
		.amdhsa_fp16_overflow 0
		.amdhsa_exception_fp_ieee_invalid_op 0
		.amdhsa_exception_fp_denorm_src 0
		.amdhsa_exception_fp_ieee_div_zero 0
		.amdhsa_exception_fp_ieee_overflow 0
		.amdhsa_exception_fp_ieee_underflow 0
		.amdhsa_exception_fp_ieee_inexact 0
		.amdhsa_exception_int_div_zero 0
	.end_amdhsa_kernel
	.section	.text._Z34scaled_masked_softmax_warp_forwardI6__halfS0_fLi0EEvPT0_PKT_PKhT1_iii,"axG",@progbits,_Z34scaled_masked_softmax_warp_forwardI6__halfS0_fLi0EEvPT0_PKT_PKhT1_iii,comdat
.Lfunc_end0:
	.size	_Z34scaled_masked_softmax_warp_forwardI6__halfS0_fLi0EEvPT0_PKT_PKhT1_iii, .Lfunc_end0-_Z34scaled_masked_softmax_warp_forwardI6__halfS0_fLi0EEvPT0_PKT_PKhT1_iii
                                        ; -- End function
	.set _Z34scaled_masked_softmax_warp_forwardI6__halfS0_fLi0EEvPT0_PKT_PKhT1_iii.num_vgpr, 12
	.set _Z34scaled_masked_softmax_warp_forwardI6__halfS0_fLi0EEvPT0_PKT_PKhT1_iii.num_agpr, 0
	.set _Z34scaled_masked_softmax_warp_forwardI6__halfS0_fLi0EEvPT0_PKT_PKhT1_iii.numbered_sgpr, 16
	.set _Z34scaled_masked_softmax_warp_forwardI6__halfS0_fLi0EEvPT0_PKT_PKhT1_iii.num_named_barrier, 0
	.set _Z34scaled_masked_softmax_warp_forwardI6__halfS0_fLi0EEvPT0_PKT_PKhT1_iii.private_seg_size, 0
	.set _Z34scaled_masked_softmax_warp_forwardI6__halfS0_fLi0EEvPT0_PKT_PKhT1_iii.uses_vcc, 1
	.set _Z34scaled_masked_softmax_warp_forwardI6__halfS0_fLi0EEvPT0_PKT_PKhT1_iii.uses_flat_scratch, 0
	.set _Z34scaled_masked_softmax_warp_forwardI6__halfS0_fLi0EEvPT0_PKT_PKhT1_iii.has_dyn_sized_stack, 0
	.set _Z34scaled_masked_softmax_warp_forwardI6__halfS0_fLi0EEvPT0_PKT_PKhT1_iii.has_recursion, 0
	.set _Z34scaled_masked_softmax_warp_forwardI6__halfS0_fLi0EEvPT0_PKT_PKhT1_iii.has_indirect_call, 0
	.section	.AMDGPU.csdata,"",@progbits
; Kernel info:
; codeLenInByte = 892
; TotalNumSgprs: 20
; NumVgprs: 12
; ScratchSize: 0
; MemoryBound: 0
; FloatMode: 240
; IeeeMode: 1
; LDSByteSize: 0 bytes/workgroup (compile time only)
; SGPRBlocks: 2
; VGPRBlocks: 2
; NumSGPRsForWavesPerEU: 20
; NumVGPRsForWavesPerEU: 12
; Occupancy: 10
; WaveLimiterHint : 0
; COMPUTE_PGM_RSRC2:SCRATCH_EN: 0
; COMPUTE_PGM_RSRC2:USER_SGPR: 6
; COMPUTE_PGM_RSRC2:TRAP_HANDLER: 0
; COMPUTE_PGM_RSRC2:TGID_X_EN: 1
; COMPUTE_PGM_RSRC2:TGID_Y_EN: 1
; COMPUTE_PGM_RSRC2:TGID_Z_EN: 1
; COMPUTE_PGM_RSRC2:TIDIG_COMP_CNT: 1
	.section	.text._Z34scaled_masked_softmax_warp_forwardI6__halfS0_fLi1EEvPT0_PKT_PKhT1_iii,"axG",@progbits,_Z34scaled_masked_softmax_warp_forwardI6__halfS0_fLi1EEvPT0_PKT_PKhT1_iii,comdat
	.protected	_Z34scaled_masked_softmax_warp_forwardI6__halfS0_fLi1EEvPT0_PKT_PKhT1_iii ; -- Begin function _Z34scaled_masked_softmax_warp_forwardI6__halfS0_fLi1EEvPT0_PKT_PKhT1_iii
	.globl	_Z34scaled_masked_softmax_warp_forwardI6__halfS0_fLi1EEvPT0_PKT_PKhT1_iii
	.p2align	8
	.type	_Z34scaled_masked_softmax_warp_forwardI6__halfS0_fLi1EEvPT0_PKT_PKhT1_iii,@function
_Z34scaled_masked_softmax_warp_forwardI6__halfS0_fLi1EEvPT0_PKT_PKhT1_iii: ; @_Z34scaled_masked_softmax_warp_forwardI6__halfS0_fLi1EEvPT0_PKT_PKhT1_iii
; %bb.0:
	s_load_dword s2, s[4:5], 0x34
	s_load_dwordx4 s[12:15], s[4:5], 0x18
	s_load_dwordx2 s[0:1], s[4:5], 0x28
	s_waitcnt lgkmcnt(0)
	s_lshr_b32 s2, s2, 16
	s_cmp_eq_u32 s15, 1
	s_mov_b32 s15, s6
	s_cbranch_scc1 .LBB1_2
; %bb.1:
	s_mul_i32 s3, s0, s8
	s_add_i32 s15, s3, s6
.LBB1_2:
	s_mul_i32 s1, s1, s8
	s_add_i32 s1, s1, s7
	s_mul_i32 s0, s0, s1
	s_and_b32 s16, 0xffff, s2
	s_add_i32 s0, s0, s6
	s_mul_i32 s0, s0, s16
	v_add_lshl_u32 v4, s0, v1, 1
	v_mad_u64_u32 v[2:3], s[0:1], v4, s14, v[0:1]
	s_load_dwordx4 s[8:11], s[4:5], 0x0
	s_load_dwordx2 s[2:3], s[4:5], 0x10
	v_sub_u32_e32 v8, s13, v4
	v_ashrrev_i32_e32 v3, 31, v2
	v_lshlrev_b64 v[2:3], 1, v[2:3]
	v_cmp_lt_i32_e32 vcc, 0, v8
	v_mov_b32_e32 v10, 0
	v_mov_b32_e32 v9, 0
	s_and_saveexec_b64 s[4:5], vcc
	s_cbranch_execz .LBB1_12
; %bb.3:
	s_mul_i32 s0, s15, s16
	v_add_u32_e32 v1, s0, v1
	v_mul_lo_u32 v1, s14, v1
	s_waitcnt lgkmcnt(0)
	v_mov_b32_e32 v4, s11
	v_add_co_u32_e64 v6, s[0:1], s10, v2
	v_addc_co_u32_e64 v7, s[0:1], v4, v3, s[0:1]
	v_lshl_add_u32 v1, v1, 1, v0
	v_ashrrev_i32_e32 v5, 31, v1
	v_mov_b32_e32 v9, s3
	v_add_co_u32_e64 v4, s[0:1], s2, v1
	v_addc_co_u32_e64 v5, s[0:1], v9, v5, s[0:1]
	v_cmp_le_i32_e64 s[0:1], s14, v0
	v_cmp_gt_i32_e64 s[2:3], s14, v0
	v_mov_b32_e32 v10, 0
	v_mov_b32_e32 v9, 0xff800000
	s_and_saveexec_b64 s[6:7], s[2:3]
	s_cbranch_execz .LBB1_5
; %bb.4:
	global_load_ushort v1, v[6:7], off
	global_load_ubyte v9, v[4:5], off
	v_mov_b32_e32 v11, 0xc61c4000
	s_waitcnt vmcnt(1)
	v_cvt_f32_f16_e32 v1, v1
	s_waitcnt vmcnt(0)
	v_cmp_ne_u16_e64 s[2:3], 1, v9
	v_mul_f32_e32 v1, s12, v1
	v_cndmask_b32_e64 v9, v11, v1, s[2:3]
.LBB1_5:
	s_or_b64 exec, exec, s[6:7]
	v_cmp_ne_u32_e64 s[2:3], 1, v8
	s_and_saveexec_b64 s[6:7], s[2:3]
	s_xor_b64 s[2:3], exec, s[6:7]
	s_cbranch_execz .LBB1_11
; %bb.6:
	s_and_saveexec_b64 s[6:7], s[0:1]
	s_xor_b64 s[0:1], exec, s[6:7]
; %bb.7:
                                        ; implicit-def: $vgpr4
                                        ; implicit-def: $vgpr6
; %bb.8:
	s_or_saveexec_b64 s[6:7], s[0:1]
	v_mov_b32_e32 v10, 0xff800000
	s_xor_b64 exec, exec, s[6:7]
	s_cbranch_execz .LBB1_10
; %bb.9:
	s_mov_b32 s15, 0
	s_lshl_b64 s[0:1], s[14:15], 1
	v_mov_b32_e32 v1, s1
	v_add_co_u32_e64 v6, s[0:1], s0, v6
	v_addc_co_u32_e64 v7, s[0:1], v7, v1, s[0:1]
	global_load_ushort v1, v[6:7], off
	v_add_co_u32_e64 v4, s[0:1], s14, v4
	v_addc_co_u32_e64 v5, s[0:1], 0, v5, s[0:1]
	global_load_ubyte v4, v[4:5], off
	v_mov_b32_e32 v5, 0xc61c4000
	s_waitcnt vmcnt(1)
	v_cvt_f32_f16_e32 v1, v1
	v_mul_f32_e32 v1, s12, v1
	s_waitcnt vmcnt(0)
	v_cmp_eq_u16_e64 s[0:1], 1, v4
	v_cndmask_b32_e64 v10, v1, v5, s[0:1]
.LBB1_10:
	s_or_b64 exec, exec, s[6:7]
.LBB1_11:
	s_or_b64 exec, exec, s[2:3]
.LBB1_12:
	s_or_b64 exec, exec, s[4:5]
	v_mbcnt_lo_u32_b32 v1, -1, 0
	v_mbcnt_hi_u32_b32 v1, -1, v1
	v_and_b32_e32 v5, 0x7e, v1
	v_xor_b32_e32 v4, 1, v1
	v_add_u32_e32 v5, 2, v5
	v_cmp_lt_i32_e64 s[0:1], v4, v5
	v_cndmask_b32_e64 v1, v1, v4, s[0:1]
	v_lshlrev_b32_e32 v1, 2, v1
	ds_bpermute_b32 v4, v1, v9
	ds_bpermute_b32 v5, v1, v10
	s_waitcnt lgkmcnt(0)
	s_mov_b32 s2, 0x3fb8aa3b
	s_mov_b32 s3, 0xc2ce8ed0
	;; [unrolled: 1-line block ×3, first 2 shown]
	v_cmp_lt_f32_e64 s[0:1], v9, v4
	v_cndmask_b32_e64 v6, v9, v4, s[0:1]
	v_sub_f32_e32 v7, v9, v6
	v_mul_f32_e32 v4, 0x3fb8aa3b, v7
	v_fma_f32 v9, v7, s2, -v4
	v_rndne_f32_e32 v11, v4
	v_fmac_f32_e32 v9, 0x32a5705f, v7
	v_sub_f32_e32 v4, v4, v11
	v_add_f32_e32 v4, v4, v9
	v_exp_f32_e32 v9, v4
	v_cvt_i32_f32_e32 v11, v11
	v_cmp_lt_f32_e64 s[0:1], v10, v5
	v_cndmask_b32_e64 v4, v10, v5, s[0:1]
	v_sub_f32_e32 v10, v10, v4
	v_ldexp_f32 v5, v9, v11
	v_mul_f32_e32 v9, 0x3fb8aa3b, v10
	v_fma_f32 v11, v10, s2, -v9
	v_rndne_f32_e32 v12, v9
	v_fmac_f32_e32 v11, 0x32a5705f, v10
	v_sub_f32_e32 v9, v9, v12
	v_add_f32_e32 v9, v9, v11
	v_exp_f32_e32 v11, v9
	v_cvt_i32_f32_e32 v12, v12
	v_cmp_ngt_f32_e64 s[0:1], s3, v7
	v_cndmask_b32_e64 v5, 0, v5, s[0:1]
	v_mov_b32_e32 v13, 0x7f800000
	v_cmp_nlt_f32_e64 s[0:1], s4, v7
	v_cndmask_b32_e64 v9, v13, v5, s[0:1]
	v_ldexp_f32 v5, v11, v12
	v_cmp_ngt_f32_e64 s[0:1], s3, v10
	v_cndmask_b32_e64 v5, 0, v5, s[0:1]
	v_cmp_nlt_f32_e64 s[0:1], s4, v10
	v_cndmask_b32_e64 v5, v13, v5, s[0:1]
	ds_bpermute_b32 v10, v1, v9
	ds_bpermute_b32 v7, v1, v5
	s_and_saveexec_b64 s[0:1], vcc
	s_cbranch_execz .LBB1_17
; %bb.13:
	v_mov_b32_e32 v11, s9
	v_add_co_u32_e32 v1, vcc, s8, v2
	v_addc_co_u32_e32 v2, vcc, v11, v3, vcc
	v_cmp_le_i32_e64 s[0:1], s14, v0
	v_cmp_gt_i32_e32 vcc, s14, v0
	s_and_saveexec_b64 s[2:3], vcc
	s_cbranch_execz .LBB1_15
; %bb.14:
	s_waitcnt lgkmcnt(1)
	v_add_f32_e32 v0, v9, v10
	v_div_scale_f32 v3, s[4:5], v0, v0, v9
	v_div_scale_f32 v10, vcc, v9, v0, v9
	s_mov_b32 s4, 0xc61c4000
	v_rcp_f32_e32 v11, v3
	v_fma_f32 v12, -v3, v11, 1.0
	v_fmac_f32_e32 v11, v12, v11
	v_mul_f32_e32 v12, v10, v11
	v_fma_f32 v13, -v3, v12, v10
	v_fmac_f32_e32 v12, v13, v11
	v_fma_f32 v3, -v3, v12, v10
	v_div_fmas_f32 v3, v3, v11, v12
	v_cmp_neq_f32_e32 vcc, s4, v6
	v_div_fixup_f32 v0, v3, v0, v9
	v_cvt_f16_f32_e32 v0, v0
	v_cndmask_b32_e32 v0, 0, v0, vcc
	global_store_short v[1:2], v0, off
.LBB1_15:
	s_or_b64 exec, exec, s[2:3]
	v_cmp_ne_u32_e32 vcc, 1, v8
	s_xor_b64 s[0:1], s[0:1], -1
	s_and_b64 s[0:1], vcc, s[0:1]
	s_and_saveexec_b64 s[2:3], s[0:1]
	s_xor_b64 s[2:3], exec, s[2:3]
	s_cbranch_execz .LBB1_17
; %bb.16:
	s_waitcnt lgkmcnt(0)
	v_add_f32_e32 v0, v5, v7
	v_div_scale_f32 v3, s[0:1], v0, v0, v5
	v_div_scale_f32 v6, vcc, v5, v0, v5
	s_mov_b32 s15, 0
	s_lshl_b64 s[0:1], s[14:15], 1
	s_mov_b32 s2, 0xc61c4000
	v_rcp_f32_e32 v7, v3
	v_fma_f32 v8, -v3, v7, 1.0
	v_fmac_f32_e32 v7, v8, v7
	v_mul_f32_e32 v8, v6, v7
	v_fma_f32 v9, -v3, v8, v6
	v_fmac_f32_e32 v8, v9, v7
	v_fma_f32 v3, -v3, v8, v6
	v_div_fmas_f32 v3, v3, v7, v8
	v_mov_b32_e32 v6, s1
	v_div_fixup_f32 v0, v3, v0, v5
	v_cvt_f16_f32_e32 v3, v0
	v_add_co_u32_e32 v0, vcc, s0, v1
	v_addc_co_u32_e32 v1, vcc, v2, v6, vcc
	v_cmp_neq_f32_e32 vcc, s2, v4
	v_cndmask_b32_e32 v2, 0, v3, vcc
	global_store_short v[0:1], v2, off
.LBB1_17:
	s_endpgm
	.section	.rodata,"a",@progbits
	.p2align	6, 0x0
	.amdhsa_kernel _Z34scaled_masked_softmax_warp_forwardI6__halfS0_fLi1EEvPT0_PKT_PKhT1_iii
		.amdhsa_group_segment_fixed_size 0
		.amdhsa_private_segment_fixed_size 0
		.amdhsa_kernarg_size 296
		.amdhsa_user_sgpr_count 6
		.amdhsa_user_sgpr_private_segment_buffer 1
		.amdhsa_user_sgpr_dispatch_ptr 0
		.amdhsa_user_sgpr_queue_ptr 0
		.amdhsa_user_sgpr_kernarg_segment_ptr 1
		.amdhsa_user_sgpr_dispatch_id 0
		.amdhsa_user_sgpr_flat_scratch_init 0
		.amdhsa_user_sgpr_private_segment_size 0
		.amdhsa_uses_dynamic_stack 0
		.amdhsa_system_sgpr_private_segment_wavefront_offset 0
		.amdhsa_system_sgpr_workgroup_id_x 1
		.amdhsa_system_sgpr_workgroup_id_y 1
		.amdhsa_system_sgpr_workgroup_id_z 1
		.amdhsa_system_sgpr_workgroup_info 0
		.amdhsa_system_vgpr_workitem_id 1
		.amdhsa_next_free_vgpr 14
		.amdhsa_next_free_sgpr 17
		.amdhsa_reserve_vcc 1
		.amdhsa_reserve_flat_scratch 0
		.amdhsa_float_round_mode_32 0
		.amdhsa_float_round_mode_16_64 0
		.amdhsa_float_denorm_mode_32 3
		.amdhsa_float_denorm_mode_16_64 3
		.amdhsa_dx10_clamp 1
		.amdhsa_ieee_mode 1
		.amdhsa_fp16_overflow 0
		.amdhsa_exception_fp_ieee_invalid_op 0
		.amdhsa_exception_fp_denorm_src 0
		.amdhsa_exception_fp_ieee_div_zero 0
		.amdhsa_exception_fp_ieee_overflow 0
		.amdhsa_exception_fp_ieee_underflow 0
		.amdhsa_exception_fp_ieee_inexact 0
		.amdhsa_exception_int_div_zero 0
	.end_amdhsa_kernel
	.section	.text._Z34scaled_masked_softmax_warp_forwardI6__halfS0_fLi1EEvPT0_PKT_PKhT1_iii,"axG",@progbits,_Z34scaled_masked_softmax_warp_forwardI6__halfS0_fLi1EEvPT0_PKT_PKhT1_iii,comdat
.Lfunc_end1:
	.size	_Z34scaled_masked_softmax_warp_forwardI6__halfS0_fLi1EEvPT0_PKT_PKhT1_iii, .Lfunc_end1-_Z34scaled_masked_softmax_warp_forwardI6__halfS0_fLi1EEvPT0_PKT_PKhT1_iii
                                        ; -- End function
	.set _Z34scaled_masked_softmax_warp_forwardI6__halfS0_fLi1EEvPT0_PKT_PKhT1_iii.num_vgpr, 14
	.set _Z34scaled_masked_softmax_warp_forwardI6__halfS0_fLi1EEvPT0_PKT_PKhT1_iii.num_agpr, 0
	.set _Z34scaled_masked_softmax_warp_forwardI6__halfS0_fLi1EEvPT0_PKT_PKhT1_iii.numbered_sgpr, 17
	.set _Z34scaled_masked_softmax_warp_forwardI6__halfS0_fLi1EEvPT0_PKT_PKhT1_iii.num_named_barrier, 0
	.set _Z34scaled_masked_softmax_warp_forwardI6__halfS0_fLi1EEvPT0_PKT_PKhT1_iii.private_seg_size, 0
	.set _Z34scaled_masked_softmax_warp_forwardI6__halfS0_fLi1EEvPT0_PKT_PKhT1_iii.uses_vcc, 1
	.set _Z34scaled_masked_softmax_warp_forwardI6__halfS0_fLi1EEvPT0_PKT_PKhT1_iii.uses_flat_scratch, 0
	.set _Z34scaled_masked_softmax_warp_forwardI6__halfS0_fLi1EEvPT0_PKT_PKhT1_iii.has_dyn_sized_stack, 0
	.set _Z34scaled_masked_softmax_warp_forwardI6__halfS0_fLi1EEvPT0_PKT_PKhT1_iii.has_recursion, 0
	.set _Z34scaled_masked_softmax_warp_forwardI6__halfS0_fLi1EEvPT0_PKT_PKhT1_iii.has_indirect_call, 0
	.section	.AMDGPU.csdata,"",@progbits
; Kernel info:
; codeLenInByte = 1112
; TotalNumSgprs: 21
; NumVgprs: 14
; ScratchSize: 0
; MemoryBound: 0
; FloatMode: 240
; IeeeMode: 1
; LDSByteSize: 0 bytes/workgroup (compile time only)
; SGPRBlocks: 2
; VGPRBlocks: 3
; NumSGPRsForWavesPerEU: 21
; NumVGPRsForWavesPerEU: 14
; Occupancy: 10
; WaveLimiterHint : 0
; COMPUTE_PGM_RSRC2:SCRATCH_EN: 0
; COMPUTE_PGM_RSRC2:USER_SGPR: 6
; COMPUTE_PGM_RSRC2:TRAP_HANDLER: 0
; COMPUTE_PGM_RSRC2:TGID_X_EN: 1
; COMPUTE_PGM_RSRC2:TGID_Y_EN: 1
; COMPUTE_PGM_RSRC2:TGID_Z_EN: 1
; COMPUTE_PGM_RSRC2:TIDIG_COMP_CNT: 1
	.section	.text._Z34scaled_masked_softmax_warp_forwardI6__halfS0_fLi2EEvPT0_PKT_PKhT1_iii,"axG",@progbits,_Z34scaled_masked_softmax_warp_forwardI6__halfS0_fLi2EEvPT0_PKT_PKhT1_iii,comdat
	.protected	_Z34scaled_masked_softmax_warp_forwardI6__halfS0_fLi2EEvPT0_PKT_PKhT1_iii ; -- Begin function _Z34scaled_masked_softmax_warp_forwardI6__halfS0_fLi2EEvPT0_PKT_PKhT1_iii
	.globl	_Z34scaled_masked_softmax_warp_forwardI6__halfS0_fLi2EEvPT0_PKT_PKhT1_iii
	.p2align	8
	.type	_Z34scaled_masked_softmax_warp_forwardI6__halfS0_fLi2EEvPT0_PKT_PKhT1_iii,@function
_Z34scaled_masked_softmax_warp_forwardI6__halfS0_fLi2EEvPT0_PKT_PKhT1_iii: ; @_Z34scaled_masked_softmax_warp_forwardI6__halfS0_fLi2EEvPT0_PKT_PKhT1_iii
; %bb.0:
	s_load_dword s2, s[4:5], 0x34
	s_load_dwordx4 s[12:15], s[4:5], 0x18
	s_load_dwordx2 s[0:1], s[4:5], 0x28
	s_waitcnt lgkmcnt(0)
	s_lshr_b32 s2, s2, 16
	s_cmp_eq_u32 s15, 1
	s_mov_b32 s15, s6
	s_cbranch_scc1 .LBB2_2
; %bb.1:
	s_mul_i32 s3, s0, s8
	s_add_i32 s15, s3, s6
.LBB2_2:
	s_mul_i32 s1, s1, s8
	s_add_i32 s1, s1, s7
	s_mul_i32 s0, s0, s1
	s_and_b32 s16, 0xffff, s2
	s_add_i32 s0, s0, s6
	s_mul_i32 s0, s0, s16
	v_add_lshl_u32 v4, s0, v1, 1
	v_mad_u64_u32 v[2:3], s[0:1], v4, s14, v[0:1]
	s_load_dwordx4 s[8:11], s[4:5], 0x0
	s_load_dwordx2 s[2:3], s[4:5], 0x10
	v_sub_u32_e32 v8, s13, v4
	v_ashrrev_i32_e32 v3, 31, v2
	v_lshlrev_b64 v[2:3], 1, v[2:3]
	v_cmp_lt_i32_e32 vcc, 0, v8
	v_mov_b32_e32 v10, 0
	v_mov_b32_e32 v9, 0
	s_and_saveexec_b64 s[4:5], vcc
	s_cbranch_execz .LBB2_12
; %bb.3:
	s_mul_i32 s0, s15, s16
	v_add_u32_e32 v1, s0, v1
	v_mul_lo_u32 v1, s14, v1
	s_waitcnt lgkmcnt(0)
	v_mov_b32_e32 v4, s11
	v_add_co_u32_e64 v6, s[0:1], s10, v2
	v_addc_co_u32_e64 v7, s[0:1], v4, v3, s[0:1]
	v_lshl_add_u32 v1, v1, 1, v0
	v_ashrrev_i32_e32 v5, 31, v1
	v_mov_b32_e32 v9, s3
	v_add_co_u32_e64 v4, s[0:1], s2, v1
	v_addc_co_u32_e64 v5, s[0:1], v9, v5, s[0:1]
	v_cmp_le_i32_e64 s[0:1], s14, v0
	v_cmp_gt_i32_e64 s[2:3], s14, v0
	v_mov_b32_e32 v10, 0
	v_mov_b32_e32 v9, 0xff800000
	s_and_saveexec_b64 s[6:7], s[2:3]
	s_cbranch_execz .LBB2_5
; %bb.4:
	global_load_ushort v1, v[6:7], off
	global_load_ubyte v9, v[4:5], off
	v_mov_b32_e32 v11, 0xc61c4000
	s_waitcnt vmcnt(1)
	v_cvt_f32_f16_e32 v1, v1
	s_waitcnt vmcnt(0)
	v_cmp_ne_u16_e64 s[2:3], 1, v9
	v_mul_f32_e32 v1, s12, v1
	v_cndmask_b32_e64 v9, v11, v1, s[2:3]
.LBB2_5:
	s_or_b64 exec, exec, s[6:7]
	v_cmp_ne_u32_e64 s[2:3], 1, v8
	s_and_saveexec_b64 s[6:7], s[2:3]
	s_xor_b64 s[2:3], exec, s[6:7]
	s_cbranch_execz .LBB2_11
; %bb.6:
	s_and_saveexec_b64 s[6:7], s[0:1]
	s_xor_b64 s[0:1], exec, s[6:7]
; %bb.7:
                                        ; implicit-def: $vgpr4
                                        ; implicit-def: $vgpr6
; %bb.8:
	s_or_saveexec_b64 s[6:7], s[0:1]
	v_mov_b32_e32 v10, 0xff800000
	s_xor_b64 exec, exec, s[6:7]
	s_cbranch_execz .LBB2_10
; %bb.9:
	s_mov_b32 s15, 0
	s_lshl_b64 s[0:1], s[14:15], 1
	v_mov_b32_e32 v1, s1
	v_add_co_u32_e64 v6, s[0:1], s0, v6
	v_addc_co_u32_e64 v7, s[0:1], v7, v1, s[0:1]
	global_load_ushort v1, v[6:7], off
	v_add_co_u32_e64 v4, s[0:1], s14, v4
	v_addc_co_u32_e64 v5, s[0:1], 0, v5, s[0:1]
	global_load_ubyte v4, v[4:5], off
	v_mov_b32_e32 v5, 0xc61c4000
	s_waitcnt vmcnt(1)
	v_cvt_f32_f16_e32 v1, v1
	v_mul_f32_e32 v1, s12, v1
	s_waitcnt vmcnt(0)
	v_cmp_eq_u16_e64 s[0:1], 1, v4
	v_cndmask_b32_e64 v10, v1, v5, s[0:1]
.LBB2_10:
	s_or_b64 exec, exec, s[6:7]
.LBB2_11:
	s_or_b64 exec, exec, s[2:3]
.LBB2_12:
	s_or_b64 exec, exec, s[4:5]
	v_mbcnt_lo_u32_b32 v1, -1, 0
	v_mbcnt_hi_u32_b32 v1, -1, v1
	v_and_b32_e32 v4, 0x7c, v1
	v_add_u32_e32 v4, 4, v4
	v_xor_b32_e32 v5, 2, v1
	v_cmp_lt_i32_e64 s[0:1], v5, v4
	v_cndmask_b32_e64 v5, v1, v5, s[0:1]
	v_lshlrev_b32_e32 v7, 2, v5
	ds_bpermute_b32 v5, v7, v9
	v_xor_b32_e32 v11, 1, v1
	ds_bpermute_b32 v6, v7, v10
	s_waitcnt lgkmcnt(0)
	s_mov_b32 s2, 0x3fb8aa3b
	s_mov_b32 s3, 0xc2ce8ed0
	v_cmp_lt_f32_e64 s[0:1], v9, v5
	v_cndmask_b32_e64 v5, v9, v5, s[0:1]
	v_cmp_lt_i32_e64 s[0:1], v11, v4
	v_cndmask_b32_e64 v1, v1, v11, s[0:1]
	v_lshlrev_b32_e32 v1, 2, v1
	ds_bpermute_b32 v4, v1, v5
	v_cmp_lt_f32_e64 s[0:1], v10, v6
	v_cndmask_b32_e64 v11, v10, v6, s[0:1]
	s_mov_b32 s4, 0x42b17218
	v_mov_b32_e32 v14, 0x7f800000
	s_waitcnt lgkmcnt(0)
	v_cmp_lt_f32_e64 s[0:1], v5, v4
	v_cndmask_b32_e64 v6, v5, v4, s[0:1]
	ds_bpermute_b32 v4, v1, v11
	v_sub_f32_e32 v5, v9, v6
	v_mul_f32_e32 v9, 0x3fb8aa3b, v5
	v_fma_f32 v12, v5, s2, -v9
	v_rndne_f32_e32 v13, v9
	v_fmac_f32_e32 v12, 0x32a5705f, v5
	v_sub_f32_e32 v9, v9, v13
	v_add_f32_e32 v9, v9, v12
	v_exp_f32_e32 v9, v9
	v_cvt_i32_f32_e32 v12, v13
	s_waitcnt lgkmcnt(0)
	v_cmp_lt_f32_e64 s[0:1], v11, v4
	v_cndmask_b32_e64 v4, v11, v4, s[0:1]
	v_sub_f32_e32 v11, v10, v4
	v_mul_f32_e32 v10, 0x3fb8aa3b, v11
	v_ldexp_f32 v9, v9, v12
	v_fma_f32 v12, v11, s2, -v10
	v_rndne_f32_e32 v13, v10
	v_fmac_f32_e32 v12, 0x32a5705f, v11
	v_sub_f32_e32 v10, v10, v13
	v_add_f32_e32 v10, v10, v12
	v_exp_f32_e32 v12, v10
	v_cvt_i32_f32_e32 v13, v13
	v_cmp_ngt_f32_e64 s[0:1], s3, v5
	v_cndmask_b32_e64 v9, 0, v9, s[0:1]
	v_cmp_nlt_f32_e64 s[0:1], s4, v5
	v_cndmask_b32_e64 v10, v14, v9, s[0:1]
	v_ldexp_f32 v5, v12, v13
	v_cmp_ngt_f32_e64 s[0:1], s3, v11
	v_cndmask_b32_e64 v5, 0, v5, s[0:1]
	v_cmp_nlt_f32_e64 s[0:1], s4, v11
	v_cndmask_b32_e64 v5, v14, v5, s[0:1]
	ds_bpermute_b32 v9, v7, v10
	ds_bpermute_b32 v7, v7, v5
	s_waitcnt lgkmcnt(1)
	v_add_f32_e32 v11, v10, v9
	s_waitcnt lgkmcnt(0)
	v_add_f32_e32 v7, v5, v7
	ds_bpermute_b32 v12, v1, v11
	ds_bpermute_b32 v9, v1, v7
	s_and_saveexec_b64 s[0:1], vcc
	s_cbranch_execz .LBB2_17
; %bb.13:
	v_mov_b32_e32 v13, s9
	v_add_co_u32_e32 v1, vcc, s8, v2
	v_addc_co_u32_e32 v2, vcc, v13, v3, vcc
	v_cmp_le_i32_e64 s[0:1], s14, v0
	v_cmp_gt_i32_e32 vcc, s14, v0
	s_and_saveexec_b64 s[2:3], vcc
	s_cbranch_execz .LBB2_15
; %bb.14:
	s_waitcnt lgkmcnt(1)
	v_add_f32_e32 v0, v11, v12
	v_div_scale_f32 v3, s[4:5], v0, v0, v10
	v_div_scale_f32 v11, vcc, v10, v0, v10
	s_mov_b32 s4, 0xc61c4000
	v_rcp_f32_e32 v12, v3
	v_fma_f32 v13, -v3, v12, 1.0
	v_fmac_f32_e32 v12, v13, v12
	v_mul_f32_e32 v13, v11, v12
	v_fma_f32 v14, -v3, v13, v11
	v_fmac_f32_e32 v13, v14, v12
	v_fma_f32 v3, -v3, v13, v11
	v_div_fmas_f32 v3, v3, v12, v13
	v_cmp_neq_f32_e32 vcc, s4, v6
	v_div_fixup_f32 v0, v3, v0, v10
	v_cvt_f16_f32_e32 v0, v0
	v_cndmask_b32_e32 v0, 0, v0, vcc
	global_store_short v[1:2], v0, off
.LBB2_15:
	s_or_b64 exec, exec, s[2:3]
	v_cmp_ne_u32_e32 vcc, 1, v8
	s_xor_b64 s[0:1], s[0:1], -1
	s_and_b64 s[0:1], vcc, s[0:1]
	s_and_saveexec_b64 s[2:3], s[0:1]
	s_xor_b64 s[2:3], exec, s[2:3]
	s_cbranch_execz .LBB2_17
; %bb.16:
	s_waitcnt lgkmcnt(0)
	v_add_f32_e32 v0, v7, v9
	v_div_scale_f32 v3, s[0:1], v0, v0, v5
	v_div_scale_f32 v6, vcc, v5, v0, v5
	s_mov_b32 s15, 0
	s_lshl_b64 s[0:1], s[14:15], 1
	s_mov_b32 s2, 0xc61c4000
	v_rcp_f32_e32 v7, v3
	v_fma_f32 v8, -v3, v7, 1.0
	v_fmac_f32_e32 v7, v8, v7
	v_mul_f32_e32 v8, v6, v7
	v_fma_f32 v9, -v3, v8, v6
	v_fmac_f32_e32 v8, v9, v7
	v_fma_f32 v3, -v3, v8, v6
	v_div_fmas_f32 v3, v3, v7, v8
	v_mov_b32_e32 v6, s1
	v_div_fixup_f32 v0, v3, v0, v5
	v_cvt_f16_f32_e32 v3, v0
	v_add_co_u32_e32 v0, vcc, s0, v1
	v_addc_co_u32_e32 v1, vcc, v2, v6, vcc
	v_cmp_neq_f32_e32 vcc, s2, v4
	v_cndmask_b32_e32 v2, 0, v3, vcc
	global_store_short v[0:1], v2, off
.LBB2_17:
	s_endpgm
	.section	.rodata,"a",@progbits
	.p2align	6, 0x0
	.amdhsa_kernel _Z34scaled_masked_softmax_warp_forwardI6__halfS0_fLi2EEvPT0_PKT_PKhT1_iii
		.amdhsa_group_segment_fixed_size 0
		.amdhsa_private_segment_fixed_size 0
		.amdhsa_kernarg_size 296
		.amdhsa_user_sgpr_count 6
		.amdhsa_user_sgpr_private_segment_buffer 1
		.amdhsa_user_sgpr_dispatch_ptr 0
		.amdhsa_user_sgpr_queue_ptr 0
		.amdhsa_user_sgpr_kernarg_segment_ptr 1
		.amdhsa_user_sgpr_dispatch_id 0
		.amdhsa_user_sgpr_flat_scratch_init 0
		.amdhsa_user_sgpr_private_segment_size 0
		.amdhsa_uses_dynamic_stack 0
		.amdhsa_system_sgpr_private_segment_wavefront_offset 0
		.amdhsa_system_sgpr_workgroup_id_x 1
		.amdhsa_system_sgpr_workgroup_id_y 1
		.amdhsa_system_sgpr_workgroup_id_z 1
		.amdhsa_system_sgpr_workgroup_info 0
		.amdhsa_system_vgpr_workitem_id 1
		.amdhsa_next_free_vgpr 15
		.amdhsa_next_free_sgpr 17
		.amdhsa_reserve_vcc 1
		.amdhsa_reserve_flat_scratch 0
		.amdhsa_float_round_mode_32 0
		.amdhsa_float_round_mode_16_64 0
		.amdhsa_float_denorm_mode_32 3
		.amdhsa_float_denorm_mode_16_64 3
		.amdhsa_dx10_clamp 1
		.amdhsa_ieee_mode 1
		.amdhsa_fp16_overflow 0
		.amdhsa_exception_fp_ieee_invalid_op 0
		.amdhsa_exception_fp_denorm_src 0
		.amdhsa_exception_fp_ieee_div_zero 0
		.amdhsa_exception_fp_ieee_overflow 0
		.amdhsa_exception_fp_ieee_underflow 0
		.amdhsa_exception_fp_ieee_inexact 0
		.amdhsa_exception_int_div_zero 0
	.end_amdhsa_kernel
	.section	.text._Z34scaled_masked_softmax_warp_forwardI6__halfS0_fLi2EEvPT0_PKT_PKhT1_iii,"axG",@progbits,_Z34scaled_masked_softmax_warp_forwardI6__halfS0_fLi2EEvPT0_PKT_PKhT1_iii,comdat
.Lfunc_end2:
	.size	_Z34scaled_masked_softmax_warp_forwardI6__halfS0_fLi2EEvPT0_PKT_PKhT1_iii, .Lfunc_end2-_Z34scaled_masked_softmax_warp_forwardI6__halfS0_fLi2EEvPT0_PKT_PKhT1_iii
                                        ; -- End function
	.set _Z34scaled_masked_softmax_warp_forwardI6__halfS0_fLi2EEvPT0_PKT_PKhT1_iii.num_vgpr, 15
	.set _Z34scaled_masked_softmax_warp_forwardI6__halfS0_fLi2EEvPT0_PKT_PKhT1_iii.num_agpr, 0
	.set _Z34scaled_masked_softmax_warp_forwardI6__halfS0_fLi2EEvPT0_PKT_PKhT1_iii.numbered_sgpr, 17
	.set _Z34scaled_masked_softmax_warp_forwardI6__halfS0_fLi2EEvPT0_PKT_PKhT1_iii.num_named_barrier, 0
	.set _Z34scaled_masked_softmax_warp_forwardI6__halfS0_fLi2EEvPT0_PKT_PKhT1_iii.private_seg_size, 0
	.set _Z34scaled_masked_softmax_warp_forwardI6__halfS0_fLi2EEvPT0_PKT_PKhT1_iii.uses_vcc, 1
	.set _Z34scaled_masked_softmax_warp_forwardI6__halfS0_fLi2EEvPT0_PKT_PKhT1_iii.uses_flat_scratch, 0
	.set _Z34scaled_masked_softmax_warp_forwardI6__halfS0_fLi2EEvPT0_PKT_PKhT1_iii.has_dyn_sized_stack, 0
	.set _Z34scaled_masked_softmax_warp_forwardI6__halfS0_fLi2EEvPT0_PKT_PKhT1_iii.has_recursion, 0
	.set _Z34scaled_masked_softmax_warp_forwardI6__halfS0_fLi2EEvPT0_PKT_PKhT1_iii.has_indirect_call, 0
	.section	.AMDGPU.csdata,"",@progbits
; Kernel info:
; codeLenInByte = 1224
; TotalNumSgprs: 21
; NumVgprs: 15
; ScratchSize: 0
; MemoryBound: 0
; FloatMode: 240
; IeeeMode: 1
; LDSByteSize: 0 bytes/workgroup (compile time only)
; SGPRBlocks: 2
; VGPRBlocks: 3
; NumSGPRsForWavesPerEU: 21
; NumVGPRsForWavesPerEU: 15
; Occupancy: 10
; WaveLimiterHint : 0
; COMPUTE_PGM_RSRC2:SCRATCH_EN: 0
; COMPUTE_PGM_RSRC2:USER_SGPR: 6
; COMPUTE_PGM_RSRC2:TRAP_HANDLER: 0
; COMPUTE_PGM_RSRC2:TGID_X_EN: 1
; COMPUTE_PGM_RSRC2:TGID_Y_EN: 1
; COMPUTE_PGM_RSRC2:TGID_Z_EN: 1
; COMPUTE_PGM_RSRC2:TIDIG_COMP_CNT: 1
	.section	.text._Z34scaled_masked_softmax_warp_forwardI6__halfS0_fLi3EEvPT0_PKT_PKhT1_iii,"axG",@progbits,_Z34scaled_masked_softmax_warp_forwardI6__halfS0_fLi3EEvPT0_PKT_PKhT1_iii,comdat
	.protected	_Z34scaled_masked_softmax_warp_forwardI6__halfS0_fLi3EEvPT0_PKT_PKhT1_iii ; -- Begin function _Z34scaled_masked_softmax_warp_forwardI6__halfS0_fLi3EEvPT0_PKT_PKhT1_iii
	.globl	_Z34scaled_masked_softmax_warp_forwardI6__halfS0_fLi3EEvPT0_PKT_PKhT1_iii
	.p2align	8
	.type	_Z34scaled_masked_softmax_warp_forwardI6__halfS0_fLi3EEvPT0_PKT_PKhT1_iii,@function
_Z34scaled_masked_softmax_warp_forwardI6__halfS0_fLi3EEvPT0_PKT_PKhT1_iii: ; @_Z34scaled_masked_softmax_warp_forwardI6__halfS0_fLi3EEvPT0_PKT_PKhT1_iii
; %bb.0:
	s_load_dword s2, s[4:5], 0x34
	s_load_dwordx4 s[12:15], s[4:5], 0x18
	s_load_dwordx2 s[0:1], s[4:5], 0x28
	s_waitcnt lgkmcnt(0)
	s_lshr_b32 s2, s2, 16
	s_cmp_eq_u32 s15, 1
	s_mov_b32 s15, s6
	s_cbranch_scc1 .LBB3_2
; %bb.1:
	s_mul_i32 s3, s0, s8
	s_add_i32 s15, s3, s6
.LBB3_2:
	s_mul_i32 s1, s1, s8
	s_add_i32 s1, s1, s7
	s_mul_i32 s0, s0, s1
	s_and_b32 s16, 0xffff, s2
	s_add_i32 s0, s0, s6
	s_mul_i32 s0, s0, s16
	v_add_lshl_u32 v4, s0, v1, 1
	v_mad_u64_u32 v[2:3], s[0:1], v4, s14, v[0:1]
	s_load_dwordx4 s[8:11], s[4:5], 0x0
	s_load_dwordx2 s[2:3], s[4:5], 0x10
	v_sub_u32_e32 v8, s13, v4
	v_ashrrev_i32_e32 v3, 31, v2
	v_lshlrev_b64 v[2:3], 1, v[2:3]
	v_cmp_lt_i32_e32 vcc, 0, v8
	v_mov_b32_e32 v10, 0
	v_mov_b32_e32 v9, 0
	s_and_saveexec_b64 s[4:5], vcc
	s_cbranch_execz .LBB3_12
; %bb.3:
	s_mul_i32 s0, s15, s16
	v_add_u32_e32 v1, s0, v1
	v_mul_lo_u32 v1, s14, v1
	s_waitcnt lgkmcnt(0)
	v_mov_b32_e32 v4, s11
	v_add_co_u32_e64 v6, s[0:1], s10, v2
	v_addc_co_u32_e64 v7, s[0:1], v4, v3, s[0:1]
	v_lshl_add_u32 v1, v1, 1, v0
	v_ashrrev_i32_e32 v5, 31, v1
	v_mov_b32_e32 v9, s3
	v_add_co_u32_e64 v4, s[0:1], s2, v1
	v_addc_co_u32_e64 v5, s[0:1], v9, v5, s[0:1]
	v_cmp_le_i32_e64 s[0:1], s14, v0
	v_cmp_gt_i32_e64 s[2:3], s14, v0
	v_mov_b32_e32 v10, 0
	v_mov_b32_e32 v9, 0xff800000
	s_and_saveexec_b64 s[6:7], s[2:3]
	s_cbranch_execz .LBB3_5
; %bb.4:
	global_load_ushort v1, v[6:7], off
	global_load_ubyte v9, v[4:5], off
	v_mov_b32_e32 v11, 0xc61c4000
	s_waitcnt vmcnt(1)
	v_cvt_f32_f16_e32 v1, v1
	s_waitcnt vmcnt(0)
	v_cmp_ne_u16_e64 s[2:3], 1, v9
	v_mul_f32_e32 v1, s12, v1
	v_cndmask_b32_e64 v9, v11, v1, s[2:3]
.LBB3_5:
	s_or_b64 exec, exec, s[6:7]
	v_cmp_ne_u32_e64 s[2:3], 1, v8
	s_and_saveexec_b64 s[6:7], s[2:3]
	s_xor_b64 s[2:3], exec, s[6:7]
	s_cbranch_execz .LBB3_11
; %bb.6:
	s_and_saveexec_b64 s[6:7], s[0:1]
	s_xor_b64 s[0:1], exec, s[6:7]
; %bb.7:
                                        ; implicit-def: $vgpr4
                                        ; implicit-def: $vgpr6
; %bb.8:
	s_or_saveexec_b64 s[6:7], s[0:1]
	v_mov_b32_e32 v10, 0xff800000
	s_xor_b64 exec, exec, s[6:7]
	s_cbranch_execz .LBB3_10
; %bb.9:
	s_mov_b32 s15, 0
	s_lshl_b64 s[0:1], s[14:15], 1
	v_mov_b32_e32 v1, s1
	v_add_co_u32_e64 v6, s[0:1], s0, v6
	v_addc_co_u32_e64 v7, s[0:1], v7, v1, s[0:1]
	global_load_ushort v1, v[6:7], off
	v_add_co_u32_e64 v4, s[0:1], s14, v4
	v_addc_co_u32_e64 v5, s[0:1], 0, v5, s[0:1]
	global_load_ubyte v4, v[4:5], off
	v_mov_b32_e32 v5, 0xc61c4000
	s_waitcnt vmcnt(1)
	v_cvt_f32_f16_e32 v1, v1
	v_mul_f32_e32 v1, s12, v1
	s_waitcnt vmcnt(0)
	v_cmp_eq_u16_e64 s[0:1], 1, v4
	v_cndmask_b32_e64 v10, v1, v5, s[0:1]
.LBB3_10:
	s_or_b64 exec, exec, s[6:7]
.LBB3_11:
	s_or_b64 exec, exec, s[2:3]
.LBB3_12:
	s_or_b64 exec, exec, s[4:5]
	v_mbcnt_lo_u32_b32 v1, -1, 0
	v_mbcnt_hi_u32_b32 v1, -1, v1
	v_and_b32_e32 v4, 0x78, v1
	v_add_u32_e32 v4, 8, v4
	v_xor_b32_e32 v5, 4, v1
	v_cmp_lt_i32_e64 s[0:1], v5, v4
	v_cndmask_b32_e64 v5, v1, v5, s[0:1]
	v_lshlrev_b32_e32 v7, 2, v5
	ds_bpermute_b32 v5, v7, v9
	v_xor_b32_e32 v11, 2, v1
	ds_bpermute_b32 v6, v7, v10
	v_xor_b32_e32 v13, 1, v1
	s_waitcnt lgkmcnt(0)
	s_mov_b32 s2, 0x3fb8aa3b
	v_cmp_lt_f32_e64 s[0:1], v9, v5
	v_cndmask_b32_e64 v5, v9, v5, s[0:1]
	v_cmp_lt_i32_e64 s[0:1], v11, v4
	v_cndmask_b32_e64 v11, v1, v11, s[0:1]
	v_lshlrev_b32_e32 v11, 2, v11
	ds_bpermute_b32 v12, v11, v5
	v_cmp_lt_f32_e64 s[0:1], v10, v6
	v_cndmask_b32_e64 v6, v10, v6, s[0:1]
	s_mov_b32 s3, 0xc2ce8ed0
	s_mov_b32 s4, 0x42b17218
	s_waitcnt lgkmcnt(0)
	v_cmp_lt_f32_e64 s[0:1], v5, v12
	v_cndmask_b32_e64 v5, v5, v12, s[0:1]
	v_cmp_lt_i32_e64 s[0:1], v13, v4
	v_cndmask_b32_e64 v1, v1, v13, s[0:1]
	ds_bpermute_b32 v12, v11, v6
	v_lshlrev_b32_e32 v1, 2, v1
	ds_bpermute_b32 v4, v1, v5
	v_mov_b32_e32 v15, 0x7f800000
	s_waitcnt lgkmcnt(1)
	v_cmp_lt_f32_e64 s[0:1], v6, v12
	v_cndmask_b32_e64 v12, v6, v12, s[0:1]
	s_waitcnt lgkmcnt(0)
	v_cmp_lt_f32_e64 s[0:1], v5, v4
	v_cndmask_b32_e64 v6, v5, v4, s[0:1]
	ds_bpermute_b32 v4, v1, v12
	v_sub_f32_e32 v5, v9, v6
	v_mul_f32_e32 v9, 0x3fb8aa3b, v5
	v_fma_f32 v13, v5, s2, -v9
	v_rndne_f32_e32 v14, v9
	v_fmac_f32_e32 v13, 0x32a5705f, v5
	v_sub_f32_e32 v9, v9, v14
	v_add_f32_e32 v9, v9, v13
	v_exp_f32_e32 v9, v9
	v_cvt_i32_f32_e32 v13, v14
	s_waitcnt lgkmcnt(0)
	v_cmp_lt_f32_e64 s[0:1], v12, v4
	v_cndmask_b32_e64 v4, v12, v4, s[0:1]
	v_sub_f32_e32 v12, v10, v4
	v_mul_f32_e32 v10, 0x3fb8aa3b, v12
	v_ldexp_f32 v9, v9, v13
	v_fma_f32 v13, v12, s2, -v10
	v_rndne_f32_e32 v14, v10
	v_fmac_f32_e32 v13, 0x32a5705f, v12
	v_sub_f32_e32 v10, v10, v14
	v_add_f32_e32 v10, v10, v13
	v_exp_f32_e32 v13, v10
	v_cvt_i32_f32_e32 v14, v14
	v_cmp_ngt_f32_e64 s[0:1], s3, v5
	v_cndmask_b32_e64 v9, 0, v9, s[0:1]
	v_cmp_nlt_f32_e64 s[0:1], s4, v5
	v_cndmask_b32_e64 v10, v15, v9, s[0:1]
	v_ldexp_f32 v5, v13, v14
	v_cmp_ngt_f32_e64 s[0:1], s3, v12
	v_cndmask_b32_e64 v5, 0, v5, s[0:1]
	v_cmp_nlt_f32_e64 s[0:1], s4, v12
	v_cndmask_b32_e64 v5, v15, v5, s[0:1]
	ds_bpermute_b32 v9, v7, v10
	ds_bpermute_b32 v7, v7, v5
	s_waitcnt lgkmcnt(1)
	v_add_f32_e32 v9, v10, v9
	s_waitcnt lgkmcnt(0)
	v_add_f32_e32 v7, v5, v7
	ds_bpermute_b32 v12, v11, v9
	ds_bpermute_b32 v13, v11, v7
	s_waitcnt lgkmcnt(1)
	v_add_f32_e32 v11, v9, v12
	s_waitcnt lgkmcnt(0)
	v_add_f32_e32 v7, v7, v13
	ds_bpermute_b32 v12, v1, v11
	ds_bpermute_b32 v9, v1, v7
	s_and_saveexec_b64 s[0:1], vcc
	s_cbranch_execz .LBB3_17
; %bb.13:
	v_mov_b32_e32 v13, s9
	v_add_co_u32_e32 v1, vcc, s8, v2
	v_addc_co_u32_e32 v2, vcc, v13, v3, vcc
	v_cmp_le_i32_e64 s[0:1], s14, v0
	v_cmp_gt_i32_e32 vcc, s14, v0
	s_and_saveexec_b64 s[2:3], vcc
	s_cbranch_execz .LBB3_15
; %bb.14:
	s_waitcnt lgkmcnt(1)
	v_add_f32_e32 v0, v11, v12
	v_div_scale_f32 v3, s[4:5], v0, v0, v10
	v_div_scale_f32 v11, vcc, v10, v0, v10
	s_mov_b32 s4, 0xc61c4000
	v_rcp_f32_e32 v12, v3
	v_fma_f32 v13, -v3, v12, 1.0
	v_fmac_f32_e32 v12, v13, v12
	v_mul_f32_e32 v13, v11, v12
	v_fma_f32 v14, -v3, v13, v11
	v_fmac_f32_e32 v13, v14, v12
	v_fma_f32 v3, -v3, v13, v11
	v_div_fmas_f32 v3, v3, v12, v13
	v_cmp_neq_f32_e32 vcc, s4, v6
	v_div_fixup_f32 v0, v3, v0, v10
	v_cvt_f16_f32_e32 v0, v0
	v_cndmask_b32_e32 v0, 0, v0, vcc
	global_store_short v[1:2], v0, off
.LBB3_15:
	s_or_b64 exec, exec, s[2:3]
	v_cmp_ne_u32_e32 vcc, 1, v8
	s_xor_b64 s[0:1], s[0:1], -1
	s_and_b64 s[0:1], vcc, s[0:1]
	s_and_saveexec_b64 s[2:3], s[0:1]
	s_xor_b64 s[2:3], exec, s[2:3]
	s_cbranch_execz .LBB3_17
; %bb.16:
	s_waitcnt lgkmcnt(0)
	v_add_f32_e32 v0, v7, v9
	v_div_scale_f32 v3, s[0:1], v0, v0, v5
	v_div_scale_f32 v6, vcc, v5, v0, v5
	s_mov_b32 s15, 0
	s_lshl_b64 s[0:1], s[14:15], 1
	s_mov_b32 s2, 0xc61c4000
	v_rcp_f32_e32 v7, v3
	v_fma_f32 v8, -v3, v7, 1.0
	v_fmac_f32_e32 v7, v8, v7
	v_mul_f32_e32 v8, v6, v7
	v_fma_f32 v9, -v3, v8, v6
	v_fmac_f32_e32 v8, v9, v7
	v_fma_f32 v3, -v3, v8, v6
	v_div_fmas_f32 v3, v3, v7, v8
	v_mov_b32_e32 v6, s1
	v_div_fixup_f32 v0, v3, v0, v5
	v_cvt_f16_f32_e32 v3, v0
	v_add_co_u32_e32 v0, vcc, s0, v1
	v_addc_co_u32_e32 v1, vcc, v2, v6, vcc
	v_cmp_neq_f32_e32 vcc, s2, v4
	v_cndmask_b32_e32 v2, 0, v3, vcc
	global_store_short v[0:1], v2, off
.LBB3_17:
	s_endpgm
	.section	.rodata,"a",@progbits
	.p2align	6, 0x0
	.amdhsa_kernel _Z34scaled_masked_softmax_warp_forwardI6__halfS0_fLi3EEvPT0_PKT_PKhT1_iii
		.amdhsa_group_segment_fixed_size 0
		.amdhsa_private_segment_fixed_size 0
		.amdhsa_kernarg_size 296
		.amdhsa_user_sgpr_count 6
		.amdhsa_user_sgpr_private_segment_buffer 1
		.amdhsa_user_sgpr_dispatch_ptr 0
		.amdhsa_user_sgpr_queue_ptr 0
		.amdhsa_user_sgpr_kernarg_segment_ptr 1
		.amdhsa_user_sgpr_dispatch_id 0
		.amdhsa_user_sgpr_flat_scratch_init 0
		.amdhsa_user_sgpr_private_segment_size 0
		.amdhsa_uses_dynamic_stack 0
		.amdhsa_system_sgpr_private_segment_wavefront_offset 0
		.amdhsa_system_sgpr_workgroup_id_x 1
		.amdhsa_system_sgpr_workgroup_id_y 1
		.amdhsa_system_sgpr_workgroup_id_z 1
		.amdhsa_system_sgpr_workgroup_info 0
		.amdhsa_system_vgpr_workitem_id 1
		.amdhsa_next_free_vgpr 16
		.amdhsa_next_free_sgpr 17
		.amdhsa_reserve_vcc 1
		.amdhsa_reserve_flat_scratch 0
		.amdhsa_float_round_mode_32 0
		.amdhsa_float_round_mode_16_64 0
		.amdhsa_float_denorm_mode_32 3
		.amdhsa_float_denorm_mode_16_64 3
		.amdhsa_dx10_clamp 1
		.amdhsa_ieee_mode 1
		.amdhsa_fp16_overflow 0
		.amdhsa_exception_fp_ieee_invalid_op 0
		.amdhsa_exception_fp_denorm_src 0
		.amdhsa_exception_fp_ieee_div_zero 0
		.amdhsa_exception_fp_ieee_overflow 0
		.amdhsa_exception_fp_ieee_underflow 0
		.amdhsa_exception_fp_ieee_inexact 0
		.amdhsa_exception_int_div_zero 0
	.end_amdhsa_kernel
	.section	.text._Z34scaled_masked_softmax_warp_forwardI6__halfS0_fLi3EEvPT0_PKT_PKhT1_iii,"axG",@progbits,_Z34scaled_masked_softmax_warp_forwardI6__halfS0_fLi3EEvPT0_PKT_PKhT1_iii,comdat
.Lfunc_end3:
	.size	_Z34scaled_masked_softmax_warp_forwardI6__halfS0_fLi3EEvPT0_PKT_PKhT1_iii, .Lfunc_end3-_Z34scaled_masked_softmax_warp_forwardI6__halfS0_fLi3EEvPT0_PKT_PKhT1_iii
                                        ; -- End function
	.set _Z34scaled_masked_softmax_warp_forwardI6__halfS0_fLi3EEvPT0_PKT_PKhT1_iii.num_vgpr, 16
	.set _Z34scaled_masked_softmax_warp_forwardI6__halfS0_fLi3EEvPT0_PKT_PKhT1_iii.num_agpr, 0
	.set _Z34scaled_masked_softmax_warp_forwardI6__halfS0_fLi3EEvPT0_PKT_PKhT1_iii.numbered_sgpr, 17
	.set _Z34scaled_masked_softmax_warp_forwardI6__halfS0_fLi3EEvPT0_PKT_PKhT1_iii.num_named_barrier, 0
	.set _Z34scaled_masked_softmax_warp_forwardI6__halfS0_fLi3EEvPT0_PKT_PKhT1_iii.private_seg_size, 0
	.set _Z34scaled_masked_softmax_warp_forwardI6__halfS0_fLi3EEvPT0_PKT_PKhT1_iii.uses_vcc, 1
	.set _Z34scaled_masked_softmax_warp_forwardI6__halfS0_fLi3EEvPT0_PKT_PKhT1_iii.uses_flat_scratch, 0
	.set _Z34scaled_masked_softmax_warp_forwardI6__halfS0_fLi3EEvPT0_PKT_PKhT1_iii.has_dyn_sized_stack, 0
	.set _Z34scaled_masked_softmax_warp_forwardI6__halfS0_fLi3EEvPT0_PKT_PKhT1_iii.has_recursion, 0
	.set _Z34scaled_masked_softmax_warp_forwardI6__halfS0_fLi3EEvPT0_PKT_PKhT1_iii.has_indirect_call, 0
	.section	.AMDGPU.csdata,"",@progbits
; Kernel info:
; codeLenInByte = 1336
; TotalNumSgprs: 21
; NumVgprs: 16
; ScratchSize: 0
; MemoryBound: 0
; FloatMode: 240
; IeeeMode: 1
; LDSByteSize: 0 bytes/workgroup (compile time only)
; SGPRBlocks: 2
; VGPRBlocks: 3
; NumSGPRsForWavesPerEU: 21
; NumVGPRsForWavesPerEU: 16
; Occupancy: 10
; WaveLimiterHint : 0
; COMPUTE_PGM_RSRC2:SCRATCH_EN: 0
; COMPUTE_PGM_RSRC2:USER_SGPR: 6
; COMPUTE_PGM_RSRC2:TRAP_HANDLER: 0
; COMPUTE_PGM_RSRC2:TGID_X_EN: 1
; COMPUTE_PGM_RSRC2:TGID_Y_EN: 1
; COMPUTE_PGM_RSRC2:TGID_Z_EN: 1
; COMPUTE_PGM_RSRC2:TIDIG_COMP_CNT: 1
	.section	.text._Z34scaled_masked_softmax_warp_forwardI6__halfS0_fLi4EEvPT0_PKT_PKhT1_iii,"axG",@progbits,_Z34scaled_masked_softmax_warp_forwardI6__halfS0_fLi4EEvPT0_PKT_PKhT1_iii,comdat
	.protected	_Z34scaled_masked_softmax_warp_forwardI6__halfS0_fLi4EEvPT0_PKT_PKhT1_iii ; -- Begin function _Z34scaled_masked_softmax_warp_forwardI6__halfS0_fLi4EEvPT0_PKT_PKhT1_iii
	.globl	_Z34scaled_masked_softmax_warp_forwardI6__halfS0_fLi4EEvPT0_PKT_PKhT1_iii
	.p2align	8
	.type	_Z34scaled_masked_softmax_warp_forwardI6__halfS0_fLi4EEvPT0_PKT_PKhT1_iii,@function
_Z34scaled_masked_softmax_warp_forwardI6__halfS0_fLi4EEvPT0_PKT_PKhT1_iii: ; @_Z34scaled_masked_softmax_warp_forwardI6__halfS0_fLi4EEvPT0_PKT_PKhT1_iii
; %bb.0:
	s_load_dword s2, s[4:5], 0x34
	s_load_dwordx4 s[12:15], s[4:5], 0x18
	s_load_dwordx2 s[0:1], s[4:5], 0x28
	s_waitcnt lgkmcnt(0)
	s_lshr_b32 s2, s2, 16
	s_cmp_eq_u32 s15, 1
	s_mov_b32 s15, s6
	s_cbranch_scc1 .LBB4_2
; %bb.1:
	s_mul_i32 s3, s0, s8
	s_add_i32 s15, s3, s6
.LBB4_2:
	s_mul_i32 s1, s1, s8
	s_add_i32 s1, s1, s7
	s_mul_i32 s0, s0, s1
	s_and_b32 s16, 0xffff, s2
	s_add_i32 s0, s0, s6
	s_mul_i32 s0, s0, s16
	v_add_lshl_u32 v4, s0, v1, 1
	v_mad_u64_u32 v[2:3], s[0:1], v4, s14, v[0:1]
	s_load_dwordx4 s[8:11], s[4:5], 0x0
	s_load_dwordx2 s[2:3], s[4:5], 0x10
	v_sub_u32_e32 v8, s13, v4
	v_ashrrev_i32_e32 v3, 31, v2
	v_lshlrev_b64 v[2:3], 1, v[2:3]
	v_cmp_lt_i32_e32 vcc, 0, v8
	v_mov_b32_e32 v10, 0
	v_mov_b32_e32 v9, 0
	s_and_saveexec_b64 s[4:5], vcc
	s_cbranch_execz .LBB4_12
; %bb.3:
	s_mul_i32 s0, s15, s16
	v_add_u32_e32 v1, s0, v1
	v_mul_lo_u32 v1, s14, v1
	s_waitcnt lgkmcnt(0)
	v_mov_b32_e32 v4, s11
	v_add_co_u32_e64 v6, s[0:1], s10, v2
	v_addc_co_u32_e64 v7, s[0:1], v4, v3, s[0:1]
	v_lshl_add_u32 v1, v1, 1, v0
	v_ashrrev_i32_e32 v5, 31, v1
	v_mov_b32_e32 v9, s3
	v_add_co_u32_e64 v4, s[0:1], s2, v1
	v_addc_co_u32_e64 v5, s[0:1], v9, v5, s[0:1]
	v_cmp_le_i32_e64 s[0:1], s14, v0
	v_cmp_gt_i32_e64 s[2:3], s14, v0
	v_mov_b32_e32 v10, 0
	v_mov_b32_e32 v9, 0xff800000
	s_and_saveexec_b64 s[6:7], s[2:3]
	s_cbranch_execz .LBB4_5
; %bb.4:
	global_load_ushort v1, v[6:7], off
	global_load_ubyte v9, v[4:5], off
	v_mov_b32_e32 v11, 0xc61c4000
	s_waitcnt vmcnt(1)
	v_cvt_f32_f16_e32 v1, v1
	s_waitcnt vmcnt(0)
	v_cmp_ne_u16_e64 s[2:3], 1, v9
	v_mul_f32_e32 v1, s12, v1
	v_cndmask_b32_e64 v9, v11, v1, s[2:3]
.LBB4_5:
	s_or_b64 exec, exec, s[6:7]
	v_cmp_ne_u32_e64 s[2:3], 1, v8
	s_and_saveexec_b64 s[6:7], s[2:3]
	s_xor_b64 s[2:3], exec, s[6:7]
	s_cbranch_execz .LBB4_11
; %bb.6:
	s_and_saveexec_b64 s[6:7], s[0:1]
	s_xor_b64 s[0:1], exec, s[6:7]
; %bb.7:
                                        ; implicit-def: $vgpr4
                                        ; implicit-def: $vgpr6
; %bb.8:
	s_or_saveexec_b64 s[6:7], s[0:1]
	v_mov_b32_e32 v10, 0xff800000
	s_xor_b64 exec, exec, s[6:7]
	s_cbranch_execz .LBB4_10
; %bb.9:
	s_mov_b32 s15, 0
	s_lshl_b64 s[0:1], s[14:15], 1
	v_mov_b32_e32 v1, s1
	v_add_co_u32_e64 v6, s[0:1], s0, v6
	v_addc_co_u32_e64 v7, s[0:1], v7, v1, s[0:1]
	global_load_ushort v1, v[6:7], off
	v_add_co_u32_e64 v4, s[0:1], s14, v4
	v_addc_co_u32_e64 v5, s[0:1], 0, v5, s[0:1]
	global_load_ubyte v4, v[4:5], off
	v_mov_b32_e32 v5, 0xc61c4000
	s_waitcnt vmcnt(1)
	v_cvt_f32_f16_e32 v1, v1
	v_mul_f32_e32 v1, s12, v1
	s_waitcnt vmcnt(0)
	v_cmp_eq_u16_e64 s[0:1], 1, v4
	v_cndmask_b32_e64 v10, v1, v5, s[0:1]
.LBB4_10:
	s_or_b64 exec, exec, s[6:7]
.LBB4_11:
	s_or_b64 exec, exec, s[2:3]
.LBB4_12:
	s_or_b64 exec, exec, s[4:5]
	v_mbcnt_lo_u32_b32 v1, -1, 0
	v_mbcnt_hi_u32_b32 v1, -1, v1
	v_and_b32_e32 v4, 0x70, v1
	v_add_u32_e32 v4, 16, v4
	v_xor_b32_e32 v5, 8, v1
	v_cmp_lt_i32_e64 s[0:1], v5, v4
	v_cndmask_b32_e64 v5, v1, v5, s[0:1]
	v_lshlrev_b32_e32 v7, 2, v5
	ds_bpermute_b32 v5, v7, v9
	v_xor_b32_e32 v11, 4, v1
	ds_bpermute_b32 v6, v7, v10
	v_xor_b32_e32 v13, 2, v1
	s_waitcnt lgkmcnt(0)
	s_mov_b32 s2, 0x3fb8aa3b
	v_cmp_lt_f32_e64 s[0:1], v9, v5
	v_cndmask_b32_e64 v5, v9, v5, s[0:1]
	v_cmp_lt_i32_e64 s[0:1], v11, v4
	v_cndmask_b32_e64 v11, v1, v11, s[0:1]
	v_lshlrev_b32_e32 v11, 2, v11
	ds_bpermute_b32 v12, v11, v5
	v_cmp_lt_f32_e64 s[0:1], v10, v6
	v_cndmask_b32_e64 v6, v10, v6, s[0:1]
	s_mov_b32 s3, 0xc2ce8ed0
	s_mov_b32 s4, 0x42b17218
	s_waitcnt lgkmcnt(0)
	v_cmp_lt_f32_e64 s[0:1], v5, v12
	v_cndmask_b32_e64 v5, v5, v12, s[0:1]
	v_cmp_lt_i32_e64 s[0:1], v13, v4
	v_cndmask_b32_e64 v13, v1, v13, s[0:1]
	ds_bpermute_b32 v12, v11, v6
	v_lshlrev_b32_e32 v13, 2, v13
	ds_bpermute_b32 v14, v13, v5
	s_waitcnt lgkmcnt(1)
	v_cmp_lt_f32_e64 s[0:1], v6, v12
	v_cndmask_b32_e64 v6, v6, v12, s[0:1]
	s_waitcnt lgkmcnt(0)
	v_cmp_lt_f32_e64 s[0:1], v5, v14
	v_cndmask_b32_e64 v5, v5, v14, s[0:1]
	v_xor_b32_e32 v14, 1, v1
	v_cmp_lt_i32_e64 s[0:1], v14, v4
	v_cndmask_b32_e64 v1, v1, v14, s[0:1]
	ds_bpermute_b32 v12, v13, v6
	v_lshlrev_b32_e32 v1, 2, v1
	ds_bpermute_b32 v4, v1, v5
	s_waitcnt lgkmcnt(1)
	v_cmp_lt_f32_e64 s[0:1], v6, v12
	v_cndmask_b32_e64 v12, v6, v12, s[0:1]
	s_waitcnt lgkmcnt(0)
	v_cmp_lt_f32_e64 s[0:1], v5, v4
	v_cndmask_b32_e64 v6, v5, v4, s[0:1]
	ds_bpermute_b32 v4, v1, v12
	v_sub_f32_e32 v5, v9, v6
	v_mul_f32_e32 v9, 0x3fb8aa3b, v5
	v_fma_f32 v14, v5, s2, -v9
	v_rndne_f32_e32 v15, v9
	v_fmac_f32_e32 v14, 0x32a5705f, v5
	v_sub_f32_e32 v9, v9, v15
	v_add_f32_e32 v9, v9, v14
	v_exp_f32_e32 v9, v9
	v_cvt_i32_f32_e32 v14, v15
	s_waitcnt lgkmcnt(0)
	v_cmp_lt_f32_e64 s[0:1], v12, v4
	v_cndmask_b32_e64 v4, v12, v4, s[0:1]
	v_sub_f32_e32 v10, v10, v4
	v_mul_f32_e32 v12, 0x3fb8aa3b, v10
	v_ldexp_f32 v9, v9, v14
	v_fma_f32 v14, v10, s2, -v12
	v_rndne_f32_e32 v15, v12
	v_fmac_f32_e32 v14, 0x32a5705f, v10
	v_sub_f32_e32 v12, v12, v15
	v_add_f32_e32 v12, v12, v14
	v_exp_f32_e32 v12, v12
	v_cvt_i32_f32_e32 v14, v15
	v_cmp_ngt_f32_e64 s[0:1], s3, v5
	v_cndmask_b32_e64 v9, 0, v9, s[0:1]
	v_mov_b32_e32 v15, 0x7f800000
	v_cmp_nlt_f32_e64 s[0:1], s4, v5
	v_cndmask_b32_e64 v9, v15, v9, s[0:1]
	v_ldexp_f32 v5, v12, v14
	v_cmp_ngt_f32_e64 s[0:1], s3, v10
	v_cndmask_b32_e64 v5, 0, v5, s[0:1]
	v_cmp_nlt_f32_e64 s[0:1], s4, v10
	v_cndmask_b32_e64 v5, v15, v5, s[0:1]
	ds_bpermute_b32 v10, v7, v9
	ds_bpermute_b32 v7, v7, v5
	s_waitcnt lgkmcnt(1)
	v_add_f32_e32 v10, v9, v10
	s_waitcnt lgkmcnt(0)
	v_add_f32_e32 v7, v5, v7
	ds_bpermute_b32 v12, v11, v10
	ds_bpermute_b32 v11, v11, v7
	s_waitcnt lgkmcnt(1)
	v_add_f32_e32 v10, v10, v12
	s_waitcnt lgkmcnt(0)
	v_add_f32_e32 v7, v7, v11
	;; [unrolled: 6-line block ×3, first 2 shown]
	ds_bpermute_b32 v12, v1, v11
	ds_bpermute_b32 v10, v1, v7
	s_and_saveexec_b64 s[0:1], vcc
	s_cbranch_execz .LBB4_17
; %bb.13:
	v_mov_b32_e32 v13, s9
	v_add_co_u32_e32 v1, vcc, s8, v2
	v_addc_co_u32_e32 v2, vcc, v13, v3, vcc
	v_cmp_le_i32_e64 s[0:1], s14, v0
	v_cmp_gt_i32_e32 vcc, s14, v0
	s_and_saveexec_b64 s[2:3], vcc
	s_cbranch_execz .LBB4_15
; %bb.14:
	s_waitcnt lgkmcnt(1)
	v_add_f32_e32 v0, v11, v12
	v_div_scale_f32 v3, s[4:5], v0, v0, v9
	v_div_scale_f32 v11, vcc, v9, v0, v9
	s_mov_b32 s4, 0xc61c4000
	v_rcp_f32_e32 v12, v3
	v_fma_f32 v13, -v3, v12, 1.0
	v_fmac_f32_e32 v12, v13, v12
	v_mul_f32_e32 v13, v11, v12
	v_fma_f32 v14, -v3, v13, v11
	v_fmac_f32_e32 v13, v14, v12
	v_fma_f32 v3, -v3, v13, v11
	v_div_fmas_f32 v3, v3, v12, v13
	v_cmp_neq_f32_e32 vcc, s4, v6
	v_div_fixup_f32 v0, v3, v0, v9
	v_cvt_f16_f32_e32 v0, v0
	v_cndmask_b32_e32 v0, 0, v0, vcc
	global_store_short v[1:2], v0, off
.LBB4_15:
	s_or_b64 exec, exec, s[2:3]
	v_cmp_ne_u32_e32 vcc, 1, v8
	s_xor_b64 s[0:1], s[0:1], -1
	s_and_b64 s[0:1], vcc, s[0:1]
	s_and_saveexec_b64 s[2:3], s[0:1]
	s_xor_b64 s[2:3], exec, s[2:3]
	s_cbranch_execz .LBB4_17
; %bb.16:
	s_waitcnt lgkmcnt(0)
	v_add_f32_e32 v0, v7, v10
	v_div_scale_f32 v3, s[0:1], v0, v0, v5
	v_div_scale_f32 v6, vcc, v5, v0, v5
	s_mov_b32 s15, 0
	s_lshl_b64 s[0:1], s[14:15], 1
	s_mov_b32 s2, 0xc61c4000
	v_rcp_f32_e32 v7, v3
	v_fma_f32 v8, -v3, v7, 1.0
	v_fmac_f32_e32 v7, v8, v7
	v_mul_f32_e32 v8, v6, v7
	v_fma_f32 v9, -v3, v8, v6
	v_fmac_f32_e32 v8, v9, v7
	v_fma_f32 v3, -v3, v8, v6
	v_div_fmas_f32 v3, v3, v7, v8
	v_mov_b32_e32 v6, s1
	v_div_fixup_f32 v0, v3, v0, v5
	v_cvt_f16_f32_e32 v3, v0
	v_add_co_u32_e32 v0, vcc, s0, v1
	v_addc_co_u32_e32 v1, vcc, v2, v6, vcc
	v_cmp_neq_f32_e32 vcc, s2, v4
	v_cndmask_b32_e32 v2, 0, v3, vcc
	global_store_short v[0:1], v2, off
.LBB4_17:
	s_endpgm
	.section	.rodata,"a",@progbits
	.p2align	6, 0x0
	.amdhsa_kernel _Z34scaled_masked_softmax_warp_forwardI6__halfS0_fLi4EEvPT0_PKT_PKhT1_iii
		.amdhsa_group_segment_fixed_size 0
		.amdhsa_private_segment_fixed_size 0
		.amdhsa_kernarg_size 296
		.amdhsa_user_sgpr_count 6
		.amdhsa_user_sgpr_private_segment_buffer 1
		.amdhsa_user_sgpr_dispatch_ptr 0
		.amdhsa_user_sgpr_queue_ptr 0
		.amdhsa_user_sgpr_kernarg_segment_ptr 1
		.amdhsa_user_sgpr_dispatch_id 0
		.amdhsa_user_sgpr_flat_scratch_init 0
		.amdhsa_user_sgpr_private_segment_size 0
		.amdhsa_uses_dynamic_stack 0
		.amdhsa_system_sgpr_private_segment_wavefront_offset 0
		.amdhsa_system_sgpr_workgroup_id_x 1
		.amdhsa_system_sgpr_workgroup_id_y 1
		.amdhsa_system_sgpr_workgroup_id_z 1
		.amdhsa_system_sgpr_workgroup_info 0
		.amdhsa_system_vgpr_workitem_id 1
		.amdhsa_next_free_vgpr 16
		.amdhsa_next_free_sgpr 17
		.amdhsa_reserve_vcc 1
		.amdhsa_reserve_flat_scratch 0
		.amdhsa_float_round_mode_32 0
		.amdhsa_float_round_mode_16_64 0
		.amdhsa_float_denorm_mode_32 3
		.amdhsa_float_denorm_mode_16_64 3
		.amdhsa_dx10_clamp 1
		.amdhsa_ieee_mode 1
		.amdhsa_fp16_overflow 0
		.amdhsa_exception_fp_ieee_invalid_op 0
		.amdhsa_exception_fp_denorm_src 0
		.amdhsa_exception_fp_ieee_div_zero 0
		.amdhsa_exception_fp_ieee_overflow 0
		.amdhsa_exception_fp_ieee_underflow 0
		.amdhsa_exception_fp_ieee_inexact 0
		.amdhsa_exception_int_div_zero 0
	.end_amdhsa_kernel
	.section	.text._Z34scaled_masked_softmax_warp_forwardI6__halfS0_fLi4EEvPT0_PKT_PKhT1_iii,"axG",@progbits,_Z34scaled_masked_softmax_warp_forwardI6__halfS0_fLi4EEvPT0_PKT_PKhT1_iii,comdat
.Lfunc_end4:
	.size	_Z34scaled_masked_softmax_warp_forwardI6__halfS0_fLi4EEvPT0_PKT_PKhT1_iii, .Lfunc_end4-_Z34scaled_masked_softmax_warp_forwardI6__halfS0_fLi4EEvPT0_PKT_PKhT1_iii
                                        ; -- End function
	.set _Z34scaled_masked_softmax_warp_forwardI6__halfS0_fLi4EEvPT0_PKT_PKhT1_iii.num_vgpr, 16
	.set _Z34scaled_masked_softmax_warp_forwardI6__halfS0_fLi4EEvPT0_PKT_PKhT1_iii.num_agpr, 0
	.set _Z34scaled_masked_softmax_warp_forwardI6__halfS0_fLi4EEvPT0_PKT_PKhT1_iii.numbered_sgpr, 17
	.set _Z34scaled_masked_softmax_warp_forwardI6__halfS0_fLi4EEvPT0_PKT_PKhT1_iii.num_named_barrier, 0
	.set _Z34scaled_masked_softmax_warp_forwardI6__halfS0_fLi4EEvPT0_PKT_PKhT1_iii.private_seg_size, 0
	.set _Z34scaled_masked_softmax_warp_forwardI6__halfS0_fLi4EEvPT0_PKT_PKhT1_iii.uses_vcc, 1
	.set _Z34scaled_masked_softmax_warp_forwardI6__halfS0_fLi4EEvPT0_PKT_PKhT1_iii.uses_flat_scratch, 0
	.set _Z34scaled_masked_softmax_warp_forwardI6__halfS0_fLi4EEvPT0_PKT_PKhT1_iii.has_dyn_sized_stack, 0
	.set _Z34scaled_masked_softmax_warp_forwardI6__halfS0_fLi4EEvPT0_PKT_PKhT1_iii.has_recursion, 0
	.set _Z34scaled_masked_softmax_warp_forwardI6__halfS0_fLi4EEvPT0_PKT_PKhT1_iii.has_indirect_call, 0
	.section	.AMDGPU.csdata,"",@progbits
; Kernel info:
; codeLenInByte = 1448
; TotalNumSgprs: 21
; NumVgprs: 16
; ScratchSize: 0
; MemoryBound: 0
; FloatMode: 240
; IeeeMode: 1
; LDSByteSize: 0 bytes/workgroup (compile time only)
; SGPRBlocks: 2
; VGPRBlocks: 3
; NumSGPRsForWavesPerEU: 21
; NumVGPRsForWavesPerEU: 16
; Occupancy: 10
; WaveLimiterHint : 0
; COMPUTE_PGM_RSRC2:SCRATCH_EN: 0
; COMPUTE_PGM_RSRC2:USER_SGPR: 6
; COMPUTE_PGM_RSRC2:TRAP_HANDLER: 0
; COMPUTE_PGM_RSRC2:TGID_X_EN: 1
; COMPUTE_PGM_RSRC2:TGID_Y_EN: 1
; COMPUTE_PGM_RSRC2:TGID_Z_EN: 1
; COMPUTE_PGM_RSRC2:TIDIG_COMP_CNT: 1
	.section	.text._Z34scaled_masked_softmax_warp_forwardI6__halfS0_fLi5EEvPT0_PKT_PKhT1_iii,"axG",@progbits,_Z34scaled_masked_softmax_warp_forwardI6__halfS0_fLi5EEvPT0_PKT_PKhT1_iii,comdat
	.protected	_Z34scaled_masked_softmax_warp_forwardI6__halfS0_fLi5EEvPT0_PKT_PKhT1_iii ; -- Begin function _Z34scaled_masked_softmax_warp_forwardI6__halfS0_fLi5EEvPT0_PKT_PKhT1_iii
	.globl	_Z34scaled_masked_softmax_warp_forwardI6__halfS0_fLi5EEvPT0_PKT_PKhT1_iii
	.p2align	8
	.type	_Z34scaled_masked_softmax_warp_forwardI6__halfS0_fLi5EEvPT0_PKT_PKhT1_iii,@function
_Z34scaled_masked_softmax_warp_forwardI6__halfS0_fLi5EEvPT0_PKT_PKhT1_iii: ; @_Z34scaled_masked_softmax_warp_forwardI6__halfS0_fLi5EEvPT0_PKT_PKhT1_iii
; %bb.0:
	s_load_dword s2, s[4:5], 0x34
	s_load_dwordx4 s[12:15], s[4:5], 0x18
	s_load_dwordx2 s[0:1], s[4:5], 0x28
	s_waitcnt lgkmcnt(0)
	s_lshr_b32 s2, s2, 16
	s_cmp_eq_u32 s15, 1
	s_mov_b32 s15, s6
	s_cbranch_scc1 .LBB5_2
; %bb.1:
	s_mul_i32 s3, s0, s8
	s_add_i32 s15, s3, s6
.LBB5_2:
	s_mul_i32 s1, s1, s8
	s_add_i32 s1, s1, s7
	s_mul_i32 s0, s0, s1
	s_and_b32 s16, 0xffff, s2
	s_add_i32 s0, s0, s6
	s_mul_i32 s0, s0, s16
	v_add_lshl_u32 v4, s0, v1, 1
	v_mad_u64_u32 v[2:3], s[0:1], v4, s14, v[0:1]
	s_load_dwordx4 s[8:11], s[4:5], 0x0
	s_load_dwordx2 s[2:3], s[4:5], 0x10
	v_sub_u32_e32 v8, s13, v4
	v_ashrrev_i32_e32 v3, 31, v2
	v_lshlrev_b64 v[2:3], 1, v[2:3]
	v_cmp_lt_i32_e32 vcc, 0, v8
	v_mov_b32_e32 v10, 0
	v_mov_b32_e32 v9, 0
	s_and_saveexec_b64 s[4:5], vcc
	s_cbranch_execz .LBB5_12
; %bb.3:
	s_mul_i32 s0, s15, s16
	v_add_u32_e32 v1, s0, v1
	v_mul_lo_u32 v1, s14, v1
	s_waitcnt lgkmcnt(0)
	v_mov_b32_e32 v4, s11
	v_add_co_u32_e64 v6, s[0:1], s10, v2
	v_addc_co_u32_e64 v7, s[0:1], v4, v3, s[0:1]
	v_lshl_add_u32 v1, v1, 1, v0
	v_ashrrev_i32_e32 v5, 31, v1
	v_mov_b32_e32 v9, s3
	v_add_co_u32_e64 v4, s[0:1], s2, v1
	v_addc_co_u32_e64 v5, s[0:1], v9, v5, s[0:1]
	v_cmp_le_i32_e64 s[0:1], s14, v0
	v_cmp_gt_i32_e64 s[2:3], s14, v0
	v_mov_b32_e32 v10, 0
	v_mov_b32_e32 v9, 0xff800000
	s_and_saveexec_b64 s[6:7], s[2:3]
	s_cbranch_execz .LBB5_5
; %bb.4:
	global_load_ushort v1, v[6:7], off
	global_load_ubyte v9, v[4:5], off
	v_mov_b32_e32 v11, 0xc61c4000
	s_waitcnt vmcnt(1)
	v_cvt_f32_f16_e32 v1, v1
	s_waitcnt vmcnt(0)
	v_cmp_ne_u16_e64 s[2:3], 1, v9
	v_mul_f32_e32 v1, s12, v1
	v_cndmask_b32_e64 v9, v11, v1, s[2:3]
.LBB5_5:
	s_or_b64 exec, exec, s[6:7]
	v_cmp_ne_u32_e64 s[2:3], 1, v8
	s_and_saveexec_b64 s[6:7], s[2:3]
	s_xor_b64 s[2:3], exec, s[6:7]
	s_cbranch_execz .LBB5_11
; %bb.6:
	s_and_saveexec_b64 s[6:7], s[0:1]
	s_xor_b64 s[0:1], exec, s[6:7]
; %bb.7:
                                        ; implicit-def: $vgpr4
                                        ; implicit-def: $vgpr6
; %bb.8:
	s_or_saveexec_b64 s[6:7], s[0:1]
	v_mov_b32_e32 v10, 0xff800000
	s_xor_b64 exec, exec, s[6:7]
	s_cbranch_execz .LBB5_10
; %bb.9:
	s_mov_b32 s15, 0
	s_lshl_b64 s[0:1], s[14:15], 1
	v_mov_b32_e32 v1, s1
	v_add_co_u32_e64 v6, s[0:1], s0, v6
	v_addc_co_u32_e64 v7, s[0:1], v7, v1, s[0:1]
	global_load_ushort v1, v[6:7], off
	v_add_co_u32_e64 v4, s[0:1], s14, v4
	v_addc_co_u32_e64 v5, s[0:1], 0, v5, s[0:1]
	global_load_ubyte v4, v[4:5], off
	v_mov_b32_e32 v5, 0xc61c4000
	s_waitcnt vmcnt(1)
	v_cvt_f32_f16_e32 v1, v1
	v_mul_f32_e32 v1, s12, v1
	s_waitcnt vmcnt(0)
	v_cmp_eq_u16_e64 s[0:1], 1, v4
	v_cndmask_b32_e64 v10, v1, v5, s[0:1]
.LBB5_10:
	s_or_b64 exec, exec, s[6:7]
.LBB5_11:
	s_or_b64 exec, exec, s[2:3]
.LBB5_12:
	s_or_b64 exec, exec, s[4:5]
	v_mbcnt_lo_u32_b32 v1, -1, 0
	v_mbcnt_hi_u32_b32 v1, -1, v1
	v_and_b32_e32 v4, 0x60, v1
	v_add_u32_e32 v4, 32, v4
	v_xor_b32_e32 v5, 16, v1
	v_cmp_lt_i32_e64 s[0:1], v5, v4
	v_cndmask_b32_e64 v5, v1, v5, s[0:1]
	v_lshlrev_b32_e32 v11, 2, v5
	ds_bpermute_b32 v5, v11, v9
	v_xor_b32_e32 v7, 8, v1
	ds_bpermute_b32 v6, v11, v10
	v_xor_b32_e32 v13, 4, v1
	s_waitcnt lgkmcnt(0)
	s_mov_b32 s2, 0x3fb8aa3b
	v_cmp_lt_f32_e64 s[0:1], v9, v5
	v_cndmask_b32_e64 v5, v9, v5, s[0:1]
	v_cmp_lt_i32_e64 s[0:1], v7, v4
	v_cndmask_b32_e64 v7, v1, v7, s[0:1]
	v_lshlrev_b32_e32 v12, 2, v7
	ds_bpermute_b32 v7, v12, v5
	v_cmp_lt_f32_e64 s[0:1], v10, v6
	v_cndmask_b32_e64 v6, v10, v6, s[0:1]
	s_mov_b32 s3, 0xc2ce8ed0
	s_mov_b32 s4, 0x42b17218
	s_waitcnt lgkmcnt(0)
	v_cmp_lt_f32_e64 s[0:1], v5, v7
	v_cndmask_b32_e64 v5, v5, v7, s[0:1]
	v_cmp_lt_i32_e64 s[0:1], v13, v4
	v_cndmask_b32_e64 v13, v1, v13, s[0:1]
	ds_bpermute_b32 v7, v12, v6
	v_lshlrev_b32_e32 v13, 2, v13
	ds_bpermute_b32 v14, v13, v5
	s_waitcnt lgkmcnt(1)
	v_cmp_lt_f32_e64 s[0:1], v6, v7
	v_cndmask_b32_e64 v6, v6, v7, s[0:1]
	s_waitcnt lgkmcnt(0)
	v_cmp_lt_f32_e64 s[0:1], v5, v14
	v_cndmask_b32_e64 v5, v5, v14, s[0:1]
	v_xor_b32_e32 v14, 2, v1
	v_cmp_lt_i32_e64 s[0:1], v14, v4
	v_cndmask_b32_e64 v14, v1, v14, s[0:1]
	ds_bpermute_b32 v7, v13, v6
	v_lshlrev_b32_e32 v14, 2, v14
	ds_bpermute_b32 v15, v14, v5
	s_waitcnt lgkmcnt(1)
	v_cmp_lt_f32_e64 s[0:1], v6, v7
	v_cndmask_b32_e64 v6, v6, v7, s[0:1]
	s_waitcnt lgkmcnt(0)
	v_cmp_lt_f32_e64 s[0:1], v5, v15
	v_cndmask_b32_e64 v5, v5, v15, s[0:1]
	v_xor_b32_e32 v15, 1, v1
	v_cmp_lt_i32_e64 s[0:1], v15, v4
	v_cndmask_b32_e64 v1, v1, v15, s[0:1]
	ds_bpermute_b32 v7, v14, v6
	v_lshlrev_b32_e32 v1, 2, v1
	ds_bpermute_b32 v4, v1, v5
	s_waitcnt lgkmcnt(1)
	v_cmp_lt_f32_e64 s[0:1], v6, v7
	v_cndmask_b32_e64 v7, v6, v7, s[0:1]
	s_waitcnt lgkmcnt(0)
	v_cmp_lt_f32_e64 s[0:1], v5, v4
	v_cndmask_b32_e64 v6, v5, v4, s[0:1]
	v_sub_f32_e32 v5, v9, v6
	v_mul_f32_e32 v9, 0x3fb8aa3b, v5
	ds_bpermute_b32 v4, v1, v7
	v_fma_f32 v15, v5, s2, -v9
	v_rndne_f32_e32 v16, v9
	v_fmac_f32_e32 v15, 0x32a5705f, v5
	v_sub_f32_e32 v9, v9, v16
	v_add_f32_e32 v9, v9, v15
	v_exp_f32_e32 v9, v9
	v_cvt_i32_f32_e32 v15, v16
	s_waitcnt lgkmcnt(0)
	v_cmp_lt_f32_e64 s[0:1], v7, v4
	v_cndmask_b32_e64 v4, v7, v4, s[0:1]
	v_cmp_ngt_f32_e64 s[0:1], s3, v5
	v_ldexp_f32 v7, v9, v15
	v_sub_f32_e32 v9, v10, v4
	v_mul_f32_e32 v10, 0x3fb8aa3b, v9
	v_fma_f32 v15, v9, s2, -v10
	v_rndne_f32_e32 v16, v10
	v_fmac_f32_e32 v15, 0x32a5705f, v9
	v_sub_f32_e32 v10, v10, v16
	v_add_f32_e32 v10, v10, v15
	v_exp_f32_e32 v10, v10
	v_cvt_i32_f32_e32 v15, v16
	v_cndmask_b32_e64 v7, 0, v7, s[0:1]
	v_mov_b32_e32 v16, 0x7f800000
	v_cmp_nlt_f32_e64 s[0:1], s4, v5
	v_cndmask_b32_e64 v7, v16, v7, s[0:1]
	v_ldexp_f32 v5, v10, v15
	v_cmp_ngt_f32_e64 s[0:1], s3, v9
	v_cndmask_b32_e64 v5, 0, v5, s[0:1]
	v_cmp_nlt_f32_e64 s[0:1], s4, v9
	v_cndmask_b32_e64 v5, v16, v5, s[0:1]
	ds_bpermute_b32 v9, v11, v7
	ds_bpermute_b32 v10, v11, v5
	s_waitcnt lgkmcnt(1)
	v_add_f32_e32 v9, v7, v9
	s_waitcnt lgkmcnt(0)
	v_add_f32_e32 v10, v5, v10
	ds_bpermute_b32 v11, v12, v9
	ds_bpermute_b32 v12, v12, v10
	s_waitcnt lgkmcnt(1)
	v_add_f32_e32 v9, v9, v11
	s_waitcnt lgkmcnt(0)
	v_add_f32_e32 v10, v10, v12
	;; [unrolled: 6-line block ×4, first 2 shown]
	ds_bpermute_b32 v12, v1, v11
	ds_bpermute_b32 v10, v1, v9
	s_and_saveexec_b64 s[0:1], vcc
	s_cbranch_execz .LBB5_17
; %bb.13:
	v_mov_b32_e32 v13, s9
	v_add_co_u32_e32 v1, vcc, s8, v2
	v_addc_co_u32_e32 v2, vcc, v13, v3, vcc
	v_cmp_le_i32_e64 s[0:1], s14, v0
	v_cmp_gt_i32_e32 vcc, s14, v0
	s_and_saveexec_b64 s[2:3], vcc
	s_cbranch_execz .LBB5_15
; %bb.14:
	s_waitcnt lgkmcnt(1)
	v_add_f32_e32 v0, v11, v12
	v_div_scale_f32 v3, s[4:5], v0, v0, v7
	v_div_scale_f32 v11, vcc, v7, v0, v7
	s_mov_b32 s4, 0xc61c4000
	v_rcp_f32_e32 v12, v3
	v_fma_f32 v13, -v3, v12, 1.0
	v_fmac_f32_e32 v12, v13, v12
	v_mul_f32_e32 v13, v11, v12
	v_fma_f32 v14, -v3, v13, v11
	v_fmac_f32_e32 v13, v14, v12
	v_fma_f32 v3, -v3, v13, v11
	v_div_fmas_f32 v3, v3, v12, v13
	v_cmp_neq_f32_e32 vcc, s4, v6
	v_div_fixup_f32 v0, v3, v0, v7
	v_cvt_f16_f32_e32 v0, v0
	v_cndmask_b32_e32 v0, 0, v0, vcc
	global_store_short v[1:2], v0, off
.LBB5_15:
	s_or_b64 exec, exec, s[2:3]
	v_cmp_ne_u32_e32 vcc, 1, v8
	s_xor_b64 s[0:1], s[0:1], -1
	s_and_b64 s[0:1], vcc, s[0:1]
	s_and_saveexec_b64 s[2:3], s[0:1]
	s_xor_b64 s[2:3], exec, s[2:3]
	s_cbranch_execz .LBB5_17
; %bb.16:
	s_waitcnt lgkmcnt(0)
	v_add_f32_e32 v0, v9, v10
	v_div_scale_f32 v3, s[0:1], v0, v0, v5
	v_div_scale_f32 v6, vcc, v5, v0, v5
	s_mov_b32 s15, 0
	s_lshl_b64 s[0:1], s[14:15], 1
	s_mov_b32 s2, 0xc61c4000
	v_rcp_f32_e32 v7, v3
	v_fma_f32 v8, -v3, v7, 1.0
	v_fmac_f32_e32 v7, v8, v7
	v_mul_f32_e32 v8, v6, v7
	v_fma_f32 v9, -v3, v8, v6
	v_fmac_f32_e32 v8, v9, v7
	v_fma_f32 v3, -v3, v8, v6
	v_div_fmas_f32 v3, v3, v7, v8
	v_mov_b32_e32 v6, s1
	v_div_fixup_f32 v0, v3, v0, v5
	v_cvt_f16_f32_e32 v3, v0
	v_add_co_u32_e32 v0, vcc, s0, v1
	v_addc_co_u32_e32 v1, vcc, v2, v6, vcc
	v_cmp_neq_f32_e32 vcc, s2, v4
	v_cndmask_b32_e32 v2, 0, v3, vcc
	global_store_short v[0:1], v2, off
.LBB5_17:
	s_endpgm
	.section	.rodata,"a",@progbits
	.p2align	6, 0x0
	.amdhsa_kernel _Z34scaled_masked_softmax_warp_forwardI6__halfS0_fLi5EEvPT0_PKT_PKhT1_iii
		.amdhsa_group_segment_fixed_size 0
		.amdhsa_private_segment_fixed_size 0
		.amdhsa_kernarg_size 296
		.amdhsa_user_sgpr_count 6
		.amdhsa_user_sgpr_private_segment_buffer 1
		.amdhsa_user_sgpr_dispatch_ptr 0
		.amdhsa_user_sgpr_queue_ptr 0
		.amdhsa_user_sgpr_kernarg_segment_ptr 1
		.amdhsa_user_sgpr_dispatch_id 0
		.amdhsa_user_sgpr_flat_scratch_init 0
		.amdhsa_user_sgpr_private_segment_size 0
		.amdhsa_uses_dynamic_stack 0
		.amdhsa_system_sgpr_private_segment_wavefront_offset 0
		.amdhsa_system_sgpr_workgroup_id_x 1
		.amdhsa_system_sgpr_workgroup_id_y 1
		.amdhsa_system_sgpr_workgroup_id_z 1
		.amdhsa_system_sgpr_workgroup_info 0
		.amdhsa_system_vgpr_workitem_id 1
		.amdhsa_next_free_vgpr 17
		.amdhsa_next_free_sgpr 17
		.amdhsa_reserve_vcc 1
		.amdhsa_reserve_flat_scratch 0
		.amdhsa_float_round_mode_32 0
		.amdhsa_float_round_mode_16_64 0
		.amdhsa_float_denorm_mode_32 3
		.amdhsa_float_denorm_mode_16_64 3
		.amdhsa_dx10_clamp 1
		.amdhsa_ieee_mode 1
		.amdhsa_fp16_overflow 0
		.amdhsa_exception_fp_ieee_invalid_op 0
		.amdhsa_exception_fp_denorm_src 0
		.amdhsa_exception_fp_ieee_div_zero 0
		.amdhsa_exception_fp_ieee_overflow 0
		.amdhsa_exception_fp_ieee_underflow 0
		.amdhsa_exception_fp_ieee_inexact 0
		.amdhsa_exception_int_div_zero 0
	.end_amdhsa_kernel
	.section	.text._Z34scaled_masked_softmax_warp_forwardI6__halfS0_fLi5EEvPT0_PKT_PKhT1_iii,"axG",@progbits,_Z34scaled_masked_softmax_warp_forwardI6__halfS0_fLi5EEvPT0_PKT_PKhT1_iii,comdat
.Lfunc_end5:
	.size	_Z34scaled_masked_softmax_warp_forwardI6__halfS0_fLi5EEvPT0_PKT_PKhT1_iii, .Lfunc_end5-_Z34scaled_masked_softmax_warp_forwardI6__halfS0_fLi5EEvPT0_PKT_PKhT1_iii
                                        ; -- End function
	.set _Z34scaled_masked_softmax_warp_forwardI6__halfS0_fLi5EEvPT0_PKT_PKhT1_iii.num_vgpr, 17
	.set _Z34scaled_masked_softmax_warp_forwardI6__halfS0_fLi5EEvPT0_PKT_PKhT1_iii.num_agpr, 0
	.set _Z34scaled_masked_softmax_warp_forwardI6__halfS0_fLi5EEvPT0_PKT_PKhT1_iii.numbered_sgpr, 17
	.set _Z34scaled_masked_softmax_warp_forwardI6__halfS0_fLi5EEvPT0_PKT_PKhT1_iii.num_named_barrier, 0
	.set _Z34scaled_masked_softmax_warp_forwardI6__halfS0_fLi5EEvPT0_PKT_PKhT1_iii.private_seg_size, 0
	.set _Z34scaled_masked_softmax_warp_forwardI6__halfS0_fLi5EEvPT0_PKT_PKhT1_iii.uses_vcc, 1
	.set _Z34scaled_masked_softmax_warp_forwardI6__halfS0_fLi5EEvPT0_PKT_PKhT1_iii.uses_flat_scratch, 0
	.set _Z34scaled_masked_softmax_warp_forwardI6__halfS0_fLi5EEvPT0_PKT_PKhT1_iii.has_dyn_sized_stack, 0
	.set _Z34scaled_masked_softmax_warp_forwardI6__halfS0_fLi5EEvPT0_PKT_PKhT1_iii.has_recursion, 0
	.set _Z34scaled_masked_softmax_warp_forwardI6__halfS0_fLi5EEvPT0_PKT_PKhT1_iii.has_indirect_call, 0
	.section	.AMDGPU.csdata,"",@progbits
; Kernel info:
; codeLenInByte = 1560
; TotalNumSgprs: 21
; NumVgprs: 17
; ScratchSize: 0
; MemoryBound: 0
; FloatMode: 240
; IeeeMode: 1
; LDSByteSize: 0 bytes/workgroup (compile time only)
; SGPRBlocks: 2
; VGPRBlocks: 4
; NumSGPRsForWavesPerEU: 21
; NumVGPRsForWavesPerEU: 17
; Occupancy: 10
; WaveLimiterHint : 0
; COMPUTE_PGM_RSRC2:SCRATCH_EN: 0
; COMPUTE_PGM_RSRC2:USER_SGPR: 6
; COMPUTE_PGM_RSRC2:TRAP_HANDLER: 0
; COMPUTE_PGM_RSRC2:TGID_X_EN: 1
; COMPUTE_PGM_RSRC2:TGID_Y_EN: 1
; COMPUTE_PGM_RSRC2:TGID_Z_EN: 1
; COMPUTE_PGM_RSRC2:TIDIG_COMP_CNT: 1
	.section	.text._Z34scaled_masked_softmax_warp_forwardI6__halfS0_fLi6EEvPT0_PKT_PKhT1_iii,"axG",@progbits,_Z34scaled_masked_softmax_warp_forwardI6__halfS0_fLi6EEvPT0_PKT_PKhT1_iii,comdat
	.protected	_Z34scaled_masked_softmax_warp_forwardI6__halfS0_fLi6EEvPT0_PKT_PKhT1_iii ; -- Begin function _Z34scaled_masked_softmax_warp_forwardI6__halfS0_fLi6EEvPT0_PKT_PKhT1_iii
	.globl	_Z34scaled_masked_softmax_warp_forwardI6__halfS0_fLi6EEvPT0_PKT_PKhT1_iii
	.p2align	8
	.type	_Z34scaled_masked_softmax_warp_forwardI6__halfS0_fLi6EEvPT0_PKT_PKhT1_iii,@function
_Z34scaled_masked_softmax_warp_forwardI6__halfS0_fLi6EEvPT0_PKT_PKhT1_iii: ; @_Z34scaled_masked_softmax_warp_forwardI6__halfS0_fLi6EEvPT0_PKT_PKhT1_iii
; %bb.0:
	s_load_dword s2, s[4:5], 0x34
	s_load_dwordx4 s[12:15], s[4:5], 0x18
	s_load_dwordx2 s[0:1], s[4:5], 0x28
	s_waitcnt lgkmcnt(0)
	s_lshr_b32 s2, s2, 16
	s_cmp_eq_u32 s15, 1
	s_mov_b32 s15, s6
	s_cbranch_scc1 .LBB6_2
; %bb.1:
	s_mul_i32 s3, s0, s8
	s_add_i32 s15, s3, s6
.LBB6_2:
	s_mul_i32 s1, s1, s8
	s_add_i32 s1, s1, s7
	s_mul_i32 s0, s0, s1
	s_and_b32 s16, 0xffff, s2
	s_add_i32 s0, s0, s6
	s_mul_i32 s0, s0, s16
	v_add_lshl_u32 v4, s0, v1, 1
	v_mad_u64_u32 v[2:3], s[0:1], v4, s14, v[0:1]
	s_load_dwordx4 s[8:11], s[4:5], 0x0
	s_load_dwordx2 s[2:3], s[4:5], 0x10
	v_sub_u32_e32 v8, s13, v4
	v_ashrrev_i32_e32 v3, 31, v2
	v_lshlrev_b64 v[2:3], 1, v[2:3]
	v_cmp_lt_i32_e32 vcc, 0, v8
                                        ; implicit-def: $vgpr10
                                        ; implicit-def: $vgpr9
                                        ; implicit-def: $vgpr12
                                        ; implicit-def: $vgpr11
	s_and_saveexec_b64 s[6:7], vcc
	s_cbranch_execz .LBB6_22
; %bb.3:
	s_mul_i32 s0, s15, s16
	v_add_u32_e32 v1, s0, v1
	v_mul_lo_u32 v1, s14, v1
	s_waitcnt lgkmcnt(0)
	v_mov_b32_e32 v5, s11
	v_add_co_u32_e64 v4, s[0:1], s10, v2
	v_addc_co_u32_e64 v5, s[0:1], v5, v3, s[0:1]
	v_lshl_add_u32 v1, v1, 1, v0
	v_ashrrev_i32_e32 v7, 31, v1
	v_mov_b32_e32 v9, s3
	v_add_co_u32_e64 v6, s[0:1], s2, v1
	v_addc_co_u32_e64 v7, s[0:1], v9, v7, s[0:1]
	v_cmp_gt_i32_e64 s[2:3], s14, v0
	v_mov_b32_e32 v9, 0xff800000
	v_mov_b32_e32 v10, 0xff800000
	s_and_saveexec_b64 s[4:5], s[2:3]
	s_cbranch_execz .LBB6_7
; %bb.4:
	global_load_ubyte v1, v[6:7], off
	v_mov_b32_e32 v10, 0xc61c4000
	s_waitcnt vmcnt(0)
	v_cmp_ne_u16_e64 s[0:1], 1, v1
	s_and_saveexec_b64 s[10:11], s[0:1]
	s_cbranch_execz .LBB6_6
; %bb.5:
	global_load_ushort v1, v[4:5], off
	s_waitcnt vmcnt(0)
	v_cvt_f32_f16_e32 v1, v1
	v_mul_f32_e32 v10, s12, v1
.LBB6_6:
	s_or_b64 exec, exec, s[10:11]
.LBB6_7:
	s_or_b64 exec, exec, s[4:5]
	v_add_u32_e32 v1, 32, v0
	v_cmp_gt_i32_e64 s[0:1], s14, v1
	s_and_saveexec_b64 s[10:11], s[0:1]
	s_cbranch_execz .LBB6_11
; %bb.8:
	global_load_ubyte v1, v[6:7], off offset:32
	v_mov_b32_e32 v9, 0xc61c4000
	s_waitcnt vmcnt(0)
	v_cmp_ne_u16_e64 s[4:5], 1, v1
	s_and_saveexec_b64 s[16:17], s[4:5]
	s_cbranch_execz .LBB6_10
; %bb.9:
	global_load_ushort v1, v[4:5], off offset:64
	s_waitcnt vmcnt(0)
	v_cvt_f32_f16_e32 v1, v1
	v_mul_f32_e32 v9, s12, v1
.LBB6_10:
	s_or_b64 exec, exec, s[16:17]
.LBB6_11:
	s_or_b64 exec, exec, s[10:11]
	v_cmp_ne_u32_e64 s[4:5], 1, v8
                                        ; implicit-def: $vgpr12
                                        ; implicit-def: $vgpr11
	s_and_saveexec_b64 s[10:11], s[4:5]
	s_cbranch_execz .LBB6_21
; %bb.12:
	v_mov_b32_e32 v11, 0xff800000
	v_mov_b32_e32 v12, 0xff800000
	s_and_saveexec_b64 s[4:5], s[2:3]
	s_cbranch_execz .LBB6_16
; %bb.13:
	v_add_co_u32_e64 v12, s[2:3], s14, v6
	v_addc_co_u32_e64 v13, s[2:3], 0, v7, s[2:3]
	global_load_ubyte v1, v[12:13], off
	s_mov_b32 s15, 0
	v_mov_b32_e32 v12, 0xc61c4000
	s_waitcnt vmcnt(0)
	v_cmp_ne_u16_e64 s[2:3], 1, v1
	s_and_saveexec_b64 s[16:17], s[2:3]
	s_cbranch_execz .LBB6_15
; %bb.14:
	s_lshl_b64 s[2:3], s[14:15], 1
	v_mov_b32_e32 v1, s3
	v_add_co_u32_e64 v12, s[2:3], s2, v4
	v_addc_co_u32_e64 v13, s[2:3], v5, v1, s[2:3]
	global_load_ushort v1, v[12:13], off
	s_waitcnt vmcnt(0)
	v_cvt_f32_f16_e32 v1, v1
	v_mul_f32_e32 v12, s12, v1
.LBB6_15:
	s_or_b64 exec, exec, s[16:17]
.LBB6_16:
	s_or_b64 exec, exec, s[4:5]
	s_and_saveexec_b64 s[2:3], s[0:1]
	s_xor_b64 s[2:3], exec, s[2:3]
	s_cbranch_execz .LBB6_20
; %bb.17:
	v_add_co_u32_e64 v6, s[0:1], s14, v6
	v_addc_co_u32_e64 v7, s[0:1], 0, v7, s[0:1]
	global_load_ubyte v1, v[6:7], off offset:32
	s_mov_b32 s15, 0
	v_mov_b32_e32 v11, 0xc61c4000
	s_waitcnt vmcnt(0)
	v_cmp_ne_u16_e64 s[0:1], 1, v1
	s_and_saveexec_b64 s[4:5], s[0:1]
	s_xor_b64 s[4:5], exec, s[4:5]
	s_cbranch_execz .LBB6_19
; %bb.18:
	s_lshl_b64 s[0:1], s[14:15], 1
	v_mov_b32_e32 v1, s1
	v_add_co_u32_e64 v4, s[0:1], s0, v4
	v_addc_co_u32_e64 v5, s[0:1], v5, v1, s[0:1]
	global_load_ushort v1, v[4:5], off offset:64
	s_waitcnt vmcnt(0)
	v_cvt_f32_f16_e32 v1, v1
	v_mul_f32_e32 v11, s12, v1
.LBB6_19:
	s_or_b64 exec, exec, s[4:5]
.LBB6_20:
	s_or_b64 exec, exec, s[2:3]
.LBB6_21:
	s_or_b64 exec, exec, s[10:11]
.LBB6_22:
	s_or_b64 exec, exec, s[6:7]
	v_mbcnt_lo_u32_b32 v1, -1, 0
	v_mbcnt_hi_u32_b32 v5, -1, v1
	v_and_b32_e32 v1, 0x60, v5
	v_cmp_gt_f32_e64 s[0:1], v10, v9
	v_add_u32_e32 v6, 32, v1
	v_xor_b32_e32 v1, 16, v5
	v_cndmask_b32_e64 v4, v9, v10, s[0:1]
	v_cmp_lt_i32_e64 s[0:1], v1, v6
	v_cndmask_b32_e64 v1, v5, v1, s[0:1]
	v_lshlrev_b32_e32 v1, 2, v1
	ds_bpermute_b32 v7, v1, v4
	v_cmp_gt_f32_e64 s[0:1], v12, v11
	v_cndmask_b32_e64 v14, v11, v12, s[0:1]
	v_xor_b32_e32 v13, 8, v5
	s_waitcnt lgkmcnt(0)
	s_mov_b32 s2, 0x3fb8aa3b
	v_cmp_lt_f32_e64 s[0:1], v4, v7
	v_cndmask_b32_e64 v4, v4, v7, s[0:1]
	v_cmp_lt_i32_e64 s[0:1], v13, v6
	v_cndmask_b32_e64 v13, v5, v13, s[0:1]
	ds_bpermute_b32 v7, v1, v14
	v_lshlrev_b32_e32 v13, 2, v13
	ds_bpermute_b32 v15, v13, v4
	s_mov_b32 s3, 0xc2ce8ed0
	s_mov_b32 s4, 0x42b17218
	s_waitcnt lgkmcnt(1)
	v_cmp_lt_f32_e64 s[0:1], v14, v7
	v_cndmask_b32_e64 v7, v14, v7, s[0:1]
	s_waitcnt lgkmcnt(0)
	v_cmp_lt_f32_e64 s[0:1], v4, v15
	v_cndmask_b32_e64 v4, v4, v15, s[0:1]
	v_xor_b32_e32 v15, 4, v5
	v_cmp_lt_i32_e64 s[0:1], v15, v6
	v_cndmask_b32_e64 v15, v5, v15, s[0:1]
	ds_bpermute_b32 v14, v13, v7
	v_lshlrev_b32_e32 v16, 2, v15
	ds_bpermute_b32 v15, v16, v4
	v_mov_b32_e32 v19, 0x7f800000
	s_waitcnt lgkmcnt(1)
	v_cmp_lt_f32_e64 s[0:1], v7, v14
	v_cndmask_b32_e64 v7, v7, v14, s[0:1]
	s_waitcnt lgkmcnt(0)
	v_cmp_lt_f32_e64 s[0:1], v4, v15
	v_cndmask_b32_e64 v4, v4, v15, s[0:1]
	v_xor_b32_e32 v15, 2, v5
	v_cmp_lt_i32_e64 s[0:1], v15, v6
	v_cndmask_b32_e64 v15, v5, v15, s[0:1]
	ds_bpermute_b32 v14, v16, v7
	v_lshlrev_b32_e32 v17, 2, v15
	ds_bpermute_b32 v15, v17, v4
	s_waitcnt lgkmcnt(1)
	v_cmp_lt_f32_e64 s[0:1], v7, v14
	v_cndmask_b32_e64 v7, v7, v14, s[0:1]
	s_waitcnt lgkmcnt(0)
	v_cmp_lt_f32_e64 s[0:1], v4, v15
	v_cndmask_b32_e64 v4, v4, v15, s[0:1]
	v_xor_b32_e32 v15, 1, v5
	v_cmp_lt_i32_e64 s[0:1], v15, v6
	v_cndmask_b32_e64 v5, v5, v15, s[0:1]
	ds_bpermute_b32 v14, v17, v7
	v_lshlrev_b32_e32 v18, 2, v5
	ds_bpermute_b32 v5, v18, v4
	s_waitcnt lgkmcnt(1)
	v_cmp_lt_f32_e64 s[0:1], v7, v14
	v_cndmask_b32_e64 v6, v7, v14, s[0:1]
	s_waitcnt lgkmcnt(0)
	v_cmp_lt_f32_e64 s[0:1], v4, v5
	v_cndmask_b32_e64 v14, v4, v5, s[0:1]
	v_sub_f32_e32 v7, v10, v14
	ds_bpermute_b32 v4, v18, v6
	v_mul_f32_e32 v5, 0x3fb8aa3b, v7
	v_fma_f32 v10, v7, s2, -v5
	v_rndne_f32_e32 v15, v5
	v_fmac_f32_e32 v10, 0x32a5705f, v7
	v_sub_f32_e32 v5, v5, v15
	v_add_f32_e32 v5, v5, v10
	v_exp_f32_e32 v10, v5
	v_cvt_i32_f32_e32 v15, v15
	s_waitcnt lgkmcnt(0)
	v_cmp_lt_f32_e64 s[0:1], v6, v4
	v_cndmask_b32_e64 v5, v6, v4, s[0:1]
	v_sub_f32_e32 v6, v9, v14
	v_mul_f32_e32 v9, 0x3fb8aa3b, v6
	v_ldexp_f32 v4, v10, v15
	v_fma_f32 v10, v6, s2, -v9
	v_rndne_f32_e32 v15, v9
	v_fmac_f32_e32 v10, 0x32a5705f, v6
	v_sub_f32_e32 v9, v9, v15
	v_add_f32_e32 v9, v9, v10
	v_exp_f32_e32 v9, v9
	v_cvt_i32_f32_e32 v10, v15
	v_cmp_ngt_f32_e64 s[0:1], s3, v7
	v_cndmask_b32_e64 v4, 0, v4, s[0:1]
	v_cmp_nlt_f32_e64 s[0:1], s4, v7
	v_cndmask_b32_e64 v15, v19, v4, s[0:1]
	v_ldexp_f32 v4, v9, v10
	v_sub_f32_e32 v9, v12, v5
	v_mul_f32_e32 v7, 0x3fb8aa3b, v9
	v_fma_f32 v10, v9, s2, -v7
	v_rndne_f32_e32 v12, v7
	v_fmac_f32_e32 v10, 0x32a5705f, v9
	v_sub_f32_e32 v7, v7, v12
	v_add_f32_e32 v7, v7, v10
	v_exp_f32_e32 v10, v7
	v_cvt_i32_f32_e32 v12, v12
	v_cmp_ngt_f32_e64 s[0:1], s3, v6
	v_cndmask_b32_e64 v4, 0, v4, s[0:1]
	v_cmp_nlt_f32_e64 s[0:1], s4, v6
	v_cndmask_b32_e64 v7, v19, v4, s[0:1]
	v_ldexp_f32 v4, v10, v12
	v_sub_f32_e32 v10, v11, v5
	v_mul_f32_e32 v6, 0x3fb8aa3b, v10
	v_fma_f32 v11, v10, s2, -v6
	v_rndne_f32_e32 v12, v6
	v_fmac_f32_e32 v11, 0x32a5705f, v10
	v_sub_f32_e32 v6, v6, v12
	v_add_f32_e32 v6, v6, v11
	v_exp_f32_e32 v11, v6
	v_cvt_i32_f32_e32 v12, v12
	v_cmp_ngt_f32_e64 s[0:1], s3, v9
	v_cndmask_b32_e64 v4, 0, v4, s[0:1]
	v_cmp_nlt_f32_e64 s[0:1], s4, v9
	v_cndmask_b32_e64 v6, v19, v4, s[0:1]
	v_ldexp_f32 v4, v11, v12
	v_cmp_ngt_f32_e64 s[0:1], s3, v10
	v_cndmask_b32_e64 v4, 0, v4, s[0:1]
	v_cmp_nlt_f32_e64 s[0:1], s4, v10
	v_cndmask_b32_e64 v4, v19, v4, s[0:1]
	v_add_f32_e32 v20, v15, v7
	v_add_f32_e32 v9, v6, v4
	ds_bpermute_b32 v10, v1, v20
	ds_bpermute_b32 v1, v1, v9
	s_waitcnt lgkmcnt(1)
	v_add_f32_e32 v10, v20, v10
	s_waitcnt lgkmcnt(0)
	v_add_f32_e32 v1, v9, v1
	ds_bpermute_b32 v9, v13, v10
	ds_bpermute_b32 v11, v13, v1
	s_waitcnt lgkmcnt(1)
	v_add_f32_e32 v9, v10, v9
	s_waitcnt lgkmcnt(0)
	;; [unrolled: 6-line block ×4, first 2 shown]
	v_add_f32_e32 v9, v1, v12
	ds_bpermute_b32 v12, v18, v11
	ds_bpermute_b32 v10, v18, v9
	s_and_saveexec_b64 s[0:1], vcc
	s_cbranch_execz .LBB6_38
; %bb.23:
	v_mov_b32_e32 v13, s9
	v_add_co_u32_e32 v1, vcc, s8, v2
	v_addc_co_u32_e32 v2, vcc, v13, v3, vcc
	v_cmp_gt_i32_e64 s[0:1], s14, v0
	s_and_saveexec_b64 s[4:5], s[0:1]
	s_cbranch_execz .LBB6_30
; %bb.24:
	s_mov_b32 s2, 0xc61c4000
	v_cmp_neq_f32_e64 s[2:3], s2, v14
	s_waitcnt lgkmcnt(1)
	v_add_f32_e32 v3, v11, v12
	v_mov_b32_e32 v11, 0
	s_and_saveexec_b64 s[6:7], s[2:3]
	s_cbranch_execz .LBB6_26
; %bb.25:
	v_div_scale_f32 v11, s[8:9], v3, v3, v15
	v_div_scale_f32 v12, vcc, v15, v3, v15
	v_rcp_f32_e32 v13, v11
	v_fma_f32 v14, -v11, v13, 1.0
	v_fmac_f32_e32 v13, v14, v13
	v_mul_f32_e32 v14, v12, v13
	v_fma_f32 v16, -v11, v14, v12
	v_fmac_f32_e32 v14, v16, v13
	v_fma_f32 v11, -v11, v14, v12
	v_div_fmas_f32 v11, v11, v13, v14
	v_div_fixup_f32 v11, v11, v3, v15
	v_cvt_f16_f32_e32 v11, v11
.LBB6_26:
	s_or_b64 exec, exec, s[6:7]
	global_store_short v[1:2], v11, off
	v_add_u32_e32 v11, 32, v0
	v_cmp_gt_u32_e32 vcc, s14, v11
	s_and_b64 exec, exec, vcc
	s_cbranch_execz .LBB6_30
; %bb.27:
	v_mov_b32_e32 v11, 0
	s_and_saveexec_b64 s[6:7], s[2:3]
	s_cbranch_execz .LBB6_29
; %bb.28:
	v_div_scale_f32 v11, s[2:3], v3, v3, v7
	v_div_scale_f32 v12, vcc, v7, v3, v7
	v_rcp_f32_e32 v13, v11
	v_fma_f32 v14, -v11, v13, 1.0
	v_fmac_f32_e32 v13, v14, v13
	v_mul_f32_e32 v14, v12, v13
	v_fma_f32 v15, -v11, v14, v12
	v_fmac_f32_e32 v14, v15, v13
	v_fma_f32 v11, -v11, v14, v12
	v_div_fmas_f32 v11, v11, v13, v14
	v_div_fixup_f32 v3, v11, v3, v7
	v_cvt_f16_f32_e32 v11, v3
.LBB6_29:
	s_or_b64 exec, exec, s[6:7]
	global_store_short v[1:2], v11, off offset:64
.LBB6_30:
	s_or_b64 exec, exec, s[4:5]
	v_cmp_ne_u32_e32 vcc, 1, v8
	s_and_saveexec_b64 s[2:3], vcc
	s_xor_b64 s[2:3], exec, s[2:3]
	s_cbranch_execz .LBB6_38
; %bb.31:
	s_and_b64 exec, exec, s[0:1]
	s_cbranch_execz .LBB6_38
; %bb.32:
	s_mov_b32 s0, 0xc61c4000
	v_cmp_neq_f32_e64 s[0:1], s0, v5
	s_waitcnt lgkmcnt(0)
	v_add_f32_e32 v3, v9, v10
	v_mov_b32_e32 v5, 0
	s_and_saveexec_b64 s[2:3], s[0:1]
	s_cbranch_execz .LBB6_34
; %bb.33:
	v_div_scale_f32 v5, s[4:5], v3, v3, v6
	v_div_scale_f32 v7, vcc, v6, v3, v6
	v_rcp_f32_e32 v8, v5
	v_fma_f32 v9, -v5, v8, 1.0
	v_fmac_f32_e32 v8, v9, v8
	v_mul_f32_e32 v9, v7, v8
	v_fma_f32 v10, -v5, v9, v7
	v_fmac_f32_e32 v9, v10, v8
	v_fma_f32 v5, -v5, v9, v7
	v_div_fmas_f32 v5, v5, v8, v9
	v_div_fixup_f32 v5, v5, v3, v6
	v_cvt_f16_f32_e32 v5, v5
.LBB6_34:
	s_or_b64 exec, exec, s[2:3]
	s_ashr_i32 s15, s14, 31
	s_lshl_b64 s[2:3], s[14:15], 1
	v_mov_b32_e32 v6, s3
	v_add_co_u32_e32 v1, vcc, s2, v1
	v_addc_co_u32_e32 v2, vcc, v2, v6, vcc
	v_add_u32_e32 v0, 32, v0
	v_cmp_gt_u32_e32 vcc, s14, v0
	global_store_short v[1:2], v5, off
	s_and_b64 exec, exec, vcc
	s_cbranch_execz .LBB6_38
; %bb.35:
	v_mov_b32_e32 v0, 0
	s_and_saveexec_b64 s[2:3], s[0:1]
	s_cbranch_execz .LBB6_37
; %bb.36:
	v_div_scale_f32 v0, s[0:1], v3, v3, v4
	v_div_scale_f32 v5, vcc, v4, v3, v4
	v_rcp_f32_e32 v6, v0
	v_fma_f32 v7, -v0, v6, 1.0
	v_fmac_f32_e32 v6, v7, v6
	v_mul_f32_e32 v7, v5, v6
	v_fma_f32 v8, -v0, v7, v5
	v_fmac_f32_e32 v7, v8, v6
	v_fma_f32 v0, -v0, v7, v5
	v_div_fmas_f32 v0, v0, v6, v7
	v_div_fixup_f32 v0, v0, v3, v4
	v_cvt_f16_f32_e32 v0, v0
.LBB6_37:
	s_or_b64 exec, exec, s[2:3]
	global_store_short v[1:2], v0, off offset:64
.LBB6_38:
	s_endpgm
	.section	.rodata,"a",@progbits
	.p2align	6, 0x0
	.amdhsa_kernel _Z34scaled_masked_softmax_warp_forwardI6__halfS0_fLi6EEvPT0_PKT_PKhT1_iii
		.amdhsa_group_segment_fixed_size 0
		.amdhsa_private_segment_fixed_size 0
		.amdhsa_kernarg_size 296
		.amdhsa_user_sgpr_count 6
		.amdhsa_user_sgpr_private_segment_buffer 1
		.amdhsa_user_sgpr_dispatch_ptr 0
		.amdhsa_user_sgpr_queue_ptr 0
		.amdhsa_user_sgpr_kernarg_segment_ptr 1
		.amdhsa_user_sgpr_dispatch_id 0
		.amdhsa_user_sgpr_flat_scratch_init 0
		.amdhsa_user_sgpr_private_segment_size 0
		.amdhsa_uses_dynamic_stack 0
		.amdhsa_system_sgpr_private_segment_wavefront_offset 0
		.amdhsa_system_sgpr_workgroup_id_x 1
		.amdhsa_system_sgpr_workgroup_id_y 1
		.amdhsa_system_sgpr_workgroup_id_z 1
		.amdhsa_system_sgpr_workgroup_info 0
		.amdhsa_system_vgpr_workitem_id 1
		.amdhsa_next_free_vgpr 21
		.amdhsa_next_free_sgpr 18
		.amdhsa_reserve_vcc 1
		.amdhsa_reserve_flat_scratch 0
		.amdhsa_float_round_mode_32 0
		.amdhsa_float_round_mode_16_64 0
		.amdhsa_float_denorm_mode_32 3
		.amdhsa_float_denorm_mode_16_64 3
		.amdhsa_dx10_clamp 1
		.amdhsa_ieee_mode 1
		.amdhsa_fp16_overflow 0
		.amdhsa_exception_fp_ieee_invalid_op 0
		.amdhsa_exception_fp_denorm_src 0
		.amdhsa_exception_fp_ieee_div_zero 0
		.amdhsa_exception_fp_ieee_overflow 0
		.amdhsa_exception_fp_ieee_underflow 0
		.amdhsa_exception_fp_ieee_inexact 0
		.amdhsa_exception_int_div_zero 0
	.end_amdhsa_kernel
	.section	.text._Z34scaled_masked_softmax_warp_forwardI6__halfS0_fLi6EEvPT0_PKT_PKhT1_iii,"axG",@progbits,_Z34scaled_masked_softmax_warp_forwardI6__halfS0_fLi6EEvPT0_PKT_PKhT1_iii,comdat
.Lfunc_end6:
	.size	_Z34scaled_masked_softmax_warp_forwardI6__halfS0_fLi6EEvPT0_PKT_PKhT1_iii, .Lfunc_end6-_Z34scaled_masked_softmax_warp_forwardI6__halfS0_fLi6EEvPT0_PKT_PKhT1_iii
                                        ; -- End function
	.set _Z34scaled_masked_softmax_warp_forwardI6__halfS0_fLi6EEvPT0_PKT_PKhT1_iii.num_vgpr, 21
	.set _Z34scaled_masked_softmax_warp_forwardI6__halfS0_fLi6EEvPT0_PKT_PKhT1_iii.num_agpr, 0
	.set _Z34scaled_masked_softmax_warp_forwardI6__halfS0_fLi6EEvPT0_PKT_PKhT1_iii.numbered_sgpr, 18
	.set _Z34scaled_masked_softmax_warp_forwardI6__halfS0_fLi6EEvPT0_PKT_PKhT1_iii.num_named_barrier, 0
	.set _Z34scaled_masked_softmax_warp_forwardI6__halfS0_fLi6EEvPT0_PKT_PKhT1_iii.private_seg_size, 0
	.set _Z34scaled_masked_softmax_warp_forwardI6__halfS0_fLi6EEvPT0_PKT_PKhT1_iii.uses_vcc, 1
	.set _Z34scaled_masked_softmax_warp_forwardI6__halfS0_fLi6EEvPT0_PKT_PKhT1_iii.uses_flat_scratch, 0
	.set _Z34scaled_masked_softmax_warp_forwardI6__halfS0_fLi6EEvPT0_PKT_PKhT1_iii.has_dyn_sized_stack, 0
	.set _Z34scaled_masked_softmax_warp_forwardI6__halfS0_fLi6EEvPT0_PKT_PKhT1_iii.has_recursion, 0
	.set _Z34scaled_masked_softmax_warp_forwardI6__halfS0_fLi6EEvPT0_PKT_PKhT1_iii.has_indirect_call, 0
	.section	.AMDGPU.csdata,"",@progbits
; Kernel info:
; codeLenInByte = 2236
; TotalNumSgprs: 22
; NumVgprs: 21
; ScratchSize: 0
; MemoryBound: 0
; FloatMode: 240
; IeeeMode: 1
; LDSByteSize: 0 bytes/workgroup (compile time only)
; SGPRBlocks: 2
; VGPRBlocks: 5
; NumSGPRsForWavesPerEU: 22
; NumVGPRsForWavesPerEU: 21
; Occupancy: 10
; WaveLimiterHint : 0
; COMPUTE_PGM_RSRC2:SCRATCH_EN: 0
; COMPUTE_PGM_RSRC2:USER_SGPR: 6
; COMPUTE_PGM_RSRC2:TRAP_HANDLER: 0
; COMPUTE_PGM_RSRC2:TGID_X_EN: 1
; COMPUTE_PGM_RSRC2:TGID_Y_EN: 1
; COMPUTE_PGM_RSRC2:TGID_Z_EN: 1
; COMPUTE_PGM_RSRC2:TIDIG_COMP_CNT: 1
	.section	.text._Z34scaled_masked_softmax_warp_forwardI6__halfS0_fLi7EEvPT0_PKT_PKhT1_iii,"axG",@progbits,_Z34scaled_masked_softmax_warp_forwardI6__halfS0_fLi7EEvPT0_PKT_PKhT1_iii,comdat
	.protected	_Z34scaled_masked_softmax_warp_forwardI6__halfS0_fLi7EEvPT0_PKT_PKhT1_iii ; -- Begin function _Z34scaled_masked_softmax_warp_forwardI6__halfS0_fLi7EEvPT0_PKT_PKhT1_iii
	.globl	_Z34scaled_masked_softmax_warp_forwardI6__halfS0_fLi7EEvPT0_PKT_PKhT1_iii
	.p2align	8
	.type	_Z34scaled_masked_softmax_warp_forwardI6__halfS0_fLi7EEvPT0_PKT_PKhT1_iii,@function
_Z34scaled_masked_softmax_warp_forwardI6__halfS0_fLi7EEvPT0_PKT_PKhT1_iii: ; @_Z34scaled_masked_softmax_warp_forwardI6__halfS0_fLi7EEvPT0_PKT_PKhT1_iii
; %bb.0:
	s_load_dword s2, s[4:5], 0x34
	s_load_dwordx4 s[12:15], s[4:5], 0x18
	s_load_dwordx2 s[0:1], s[4:5], 0x28
	s_waitcnt lgkmcnt(0)
	s_lshr_b32 s2, s2, 16
	s_cmp_eq_u32 s15, 1
	s_mov_b32 s15, s6
	s_cbranch_scc1 .LBB7_2
; %bb.1:
	s_mul_i32 s3, s0, s8
	s_add_i32 s15, s3, s6
.LBB7_2:
	s_mul_i32 s1, s1, s8
	s_add_i32 s1, s1, s7
	s_mul_i32 s0, s0, s1
	s_and_b32 s16, 0xffff, s2
	s_add_i32 s0, s0, s6
	s_mul_i32 s0, s0, s16
	v_add_lshl_u32 v4, s0, v1, 1
	v_lshlrev_b32_e32 v0, 2, v0
	v_mad_u64_u32 v[2:3], s[0:1], v4, s14, v[0:1]
	s_load_dwordx4 s[8:11], s[4:5], 0x0
	s_load_dwordx2 s[2:3], s[4:5], 0x10
	v_sub_u32_e32 v8, s13, v4
	v_ashrrev_i32_e32 v3, 31, v2
	v_lshlrev_b64 v[2:3], 1, v[2:3]
	v_cmp_lt_i32_e32 vcc, 0, v8
                                        ; implicit-def: $vgpr16
                                        ; implicit-def: $vgpr15
                                        ; implicit-def: $vgpr12
                                        ; implicit-def: $vgpr10
                                        ; implicit-def: $vgpr13
                                        ; implicit-def: $vgpr14
                                        ; implicit-def: $vgpr11
                                        ; implicit-def: $vgpr9
	s_and_saveexec_b64 s[4:5], vcc
	s_cbranch_execz .LBB7_14
; %bb.3:
	s_mul_i32 s0, s15, s16
	v_add_u32_e32 v1, s0, v1
	v_mul_lo_u32 v1, s14, v1
	s_waitcnt lgkmcnt(0)
	v_mov_b32_e32 v5, s11
	v_add_co_u32_e64 v4, s[0:1], s10, v2
	v_addc_co_u32_e64 v5, s[0:1], v5, v3, s[0:1]
	v_lshl_add_u32 v1, v1, 1, v0
	v_ashrrev_i32_e32 v7, 31, v1
	v_mov_b32_e32 v9, s3
	v_add_co_u32_e64 v6, s[0:1], s2, v1
	v_addc_co_u32_e64 v7, s[0:1], v9, v7, s[0:1]
	v_cmp_gt_i32_e64 s[0:1], s14, v0
	v_mov_b32_e32 v16, 0xff800000
	v_mov_b32_e32 v15, 0xff800000
	;; [unrolled: 1-line block ×4, first 2 shown]
	s_and_saveexec_b64 s[6:7], s[0:1]
	s_cbranch_execz .LBB7_7
; %bb.4:
	global_load_dword v1, v[6:7], off
	global_load_dword v12, v[4:5], off offset:2
	global_load_ushort v11, v[4:5], off offset:6
	v_mov_b32_e32 v9, 1
	s_movk_i32 s10, 0xff
	v_mov_b32_e32 v10, 0xc61c4000
	v_mov_b32_e32 v16, 0xc61c4000
	s_waitcnt vmcnt(2)
	v_lshrrev_b32_e32 v13, 8, v1
	v_cmp_ne_u16_sdwa s[16:17], v1, v9 src0_sel:BYTE_0 src1_sel:DWORD
	s_and_saveexec_b64 s[2:3], s[16:17]
	s_cbranch_execz .LBB7_6
; %bb.5:
	global_load_ushort v14, v[4:5], off
	s_waitcnt vmcnt(0)
	v_cvt_f32_f16_e32 v14, v14
	v_mul_f32_e32 v16, s12, v14
.LBB7_6:
	s_or_b64 exec, exec, s[2:3]
	s_waitcnt vmcnt(1)
	v_cvt_f32_f16_e32 v14, v12
	v_cvt_f32_f16_sdwa v12, v12 dst_sel:DWORD dst_unused:UNUSED_PAD src0_sel:WORD_1
	s_waitcnt vmcnt(0)
	v_cvt_f32_f16_e32 v11, v11
	v_and_b32_sdwa v17, v1, s10 dst_sel:DWORD dst_unused:UNUSED_PAD src0_sel:WORD_1 src1_sel:DWORD
	v_mul_f32_e32 v14, s12, v14
	v_cmp_ne_u16_sdwa s[2:3], v13, v9 src0_sel:BYTE_0 src1_sel:DWORD
	v_cndmask_b32_e64 v15, v10, v14, s[2:3]
	v_mul_f32_e32 v12, s12, v12
	v_cmp_ne_u16_e64 s[2:3], 1, v17
	v_cndmask_b32_e64 v12, v10, v12, s[2:3]
	v_mul_f32_e32 v11, s12, v11
	v_cmp_ne_u16_sdwa s[2:3], v1, v9 src0_sel:BYTE_3 src1_sel:DWORD
	v_cndmask_b32_e64 v10, v10, v11, s[2:3]
.LBB7_7:
	s_or_b64 exec, exec, s[6:7]
	v_cmp_ne_u32_e64 s[2:3], 1, v8
                                        ; implicit-def: $vgpr13
                                        ; implicit-def: $vgpr14
                                        ; implicit-def: $vgpr11
                                        ; implicit-def: $vgpr9
	s_and_saveexec_b64 s[6:7], s[2:3]
	s_xor_b64 s[2:3], exec, s[6:7]
	s_cbranch_execz .LBB7_13
; %bb.8:
	v_mov_b32_e32 v13, 0xff800000
	v_mov_b32_e32 v14, 0xff800000
	;; [unrolled: 1-line block ×4, first 2 shown]
	s_and_saveexec_b64 s[6:7], s[0:1]
	s_cbranch_execz .LBB7_12
; %bb.9:
	v_add_co_u32_e64 v6, s[0:1], s14, v6
	s_mov_b32 s15, 0
	v_addc_co_u32_e64 v7, s[0:1], 0, v7, s[0:1]
	s_lshl_b64 s[0:1], s[14:15], 1
	v_mov_b32_e32 v9, s1
	v_add_co_u32_e64 v4, s[0:1], s0, v4
	global_load_dword v1, v[6:7], off
	v_addc_co_u32_e64 v5, s[0:1], v5, v9, s[0:1]
	global_load_dword v11, v[4:5], off offset:2
	global_load_ushort v9, v[4:5], off offset:6
	v_mov_b32_e32 v6, 1
	s_movk_i32 s10, 0xff
	v_mov_b32_e32 v7, 0xc61c4000
	v_mov_b32_e32 v13, 0xc61c4000
	s_waitcnt vmcnt(2)
	v_lshrrev_b32_e32 v14, 8, v1
	v_cmp_ne_u16_sdwa s[16:17], v1, v6 src0_sel:BYTE_0 src1_sel:DWORD
	s_and_saveexec_b64 s[0:1], s[16:17]
	s_cbranch_execz .LBB7_11
; %bb.10:
	global_load_ushort v4, v[4:5], off
	s_waitcnt vmcnt(0)
	v_cvt_f32_f16_e32 v4, v4
	v_mul_f32_e32 v13, s12, v4
.LBB7_11:
	s_or_b64 exec, exec, s[0:1]
	s_waitcnt vmcnt(1)
	v_cvt_f32_f16_e32 v4, v11
	v_cvt_f32_f16_sdwa v11, v11 dst_sel:DWORD dst_unused:UNUSED_PAD src0_sel:WORD_1
	v_cmp_ne_u16_sdwa s[0:1], v14, v6 src0_sel:BYTE_0 src1_sel:DWORD
	v_and_b32_sdwa v5, v1, s10 dst_sel:DWORD dst_unused:UNUSED_PAD src0_sel:WORD_1 src1_sel:DWORD
	v_mul_f32_e32 v4, s12, v4
	v_cndmask_b32_e64 v14, v7, v4, s[0:1]
	s_waitcnt vmcnt(0)
	v_cvt_f32_f16_e32 v4, v9
	v_mul_f32_e32 v9, s12, v11
	v_cmp_ne_u16_e64 s[0:1], 1, v5
	v_cndmask_b32_e64 v11, v7, v9, s[0:1]
	v_mul_f32_e32 v4, s12, v4
	v_cmp_ne_u16_sdwa s[0:1], v1, v6 src0_sel:BYTE_3 src1_sel:DWORD
	v_cndmask_b32_e64 v9, v7, v4, s[0:1]
.LBB7_12:
	s_or_b64 exec, exec, s[6:7]
.LBB7_13:
	s_or_b64 exec, exec, s[2:3]
.LBB7_14:
	s_or_b64 exec, exec, s[4:5]
	v_cmp_gt_f32_e64 s[0:1], v16, v15
	v_cndmask_b32_e64 v1, v15, v16, s[0:1]
	v_cmp_gt_f32_e64 s[0:1], v1, v12
	v_cndmask_b32_e64 v6, v12, v1, s[0:1]
	;; [unrolled: 2-line block ×4, first 2 shown]
	v_mbcnt_lo_u32_b32 v1, -1, 0
	v_mbcnt_hi_u32_b32 v17, -1, v1
	v_and_b32_e32 v1, 0x60, v17
	v_add_u32_e32 v18, 32, v1
	v_xor_b32_e32 v1, 16, v17
	v_cmp_lt_i32_e64 s[0:1], v1, v18
	v_cndmask_b32_e64 v1, v17, v1, s[0:1]
	v_lshlrev_b32_e32 v5, 2, v1
	v_xor_b32_e32 v1, 8, v17
	v_cmp_lt_i32_e64 s[0:1], v1, v18
	v_cndmask_b32_e64 v1, v17, v1, s[0:1]
	v_lshlrev_b32_e32 v4, 2, v1
	v_xor_b32_e32 v1, 4, v17
	v_cmp_lt_i32_e64 s[0:1], v1, v18
	v_xor_b32_e32 v19, 2, v17
	v_cndmask_b32_e64 v1, v17, v1, s[0:1]
	v_cmp_lt_i32_e64 s[0:1], v19, v18
	v_cndmask_b32_e64 v19, v17, v19, s[0:1]
	v_cmp_gt_f32_e64 s[0:1], v6, v10
	v_cndmask_b32_e64 v20, v10, v6, s[0:1]
	ds_bpermute_b32 v21, v5, v20
	v_cmp_gt_f32_e64 s[0:1], v7, v9
	v_cndmask_b32_e64 v7, v9, v7, s[0:1]
	v_lshlrev_b32_e32 v6, 2, v19
	ds_bpermute_b32 v19, v5, v7
	s_waitcnt lgkmcnt(0)
	v_cmp_lt_f32_e64 s[0:1], v20, v21
	v_cndmask_b32_e64 v20, v20, v21, s[0:1]
	ds_bpermute_b32 v21, v4, v20
	v_lshlrev_b32_e32 v1, 2, v1
	v_cmp_lt_f32_e64 s[0:1], v7, v19
	v_cndmask_b32_e64 v7, v7, v19, s[0:1]
	ds_bpermute_b32 v19, v4, v7
	s_waitcnt lgkmcnt(1)
	v_cmp_lt_f32_e64 s[0:1], v20, v21
	v_cndmask_b32_e64 v20, v20, v21, s[0:1]
	ds_bpermute_b32 v21, v1, v20
	v_xor_b32_e32 v22, 1, v17
	v_cmp_lt_i32_e64 s[0:1], v22, v18
	v_cndmask_b32_e64 v17, v17, v22, s[0:1]
	s_waitcnt lgkmcnt(1)
	v_cmp_lt_f32_e64 s[0:1], v7, v19
	v_cndmask_b32_e64 v7, v7, v19, s[0:1]
	s_waitcnt lgkmcnt(0)
	v_cmp_lt_f32_e64 s[0:1], v20, v21
	ds_bpermute_b32 v18, v1, v7
	v_cndmask_b32_e64 v19, v20, v21, s[0:1]
	ds_bpermute_b32 v20, v6, v19
	v_lshlrev_b32_e32 v17, 2, v17
	s_mov_b32 s6, 0x3fb8aa3b
	s_waitcnt lgkmcnt(1)
	v_cmp_lt_f32_e64 s[0:1], v7, v18
	v_cndmask_b32_e64 v7, v7, v18, s[0:1]
	s_waitcnt lgkmcnt(0)
	v_cmp_lt_f32_e64 s[0:1], v19, v20
	ds_bpermute_b32 v18, v6, v7
	v_cndmask_b32_e64 v19, v19, v20, s[0:1]
	ds_bpermute_b32 v20, v17, v19
	s_mov_b32 s7, 0xc2ce8ed0
	s_mov_b32 s10, 0x42b17218
	s_waitcnt lgkmcnt(1)
	v_cmp_lt_f32_e64 s[0:1], v7, v18
	v_cndmask_b32_e64 v7, v7, v18, s[0:1]
	s_waitcnt lgkmcnt(0)
	v_cmp_lt_f32_e64 s[0:1], v19, v20
	v_cndmask_b32_e64 v18, v19, v20, s[0:1]
	v_sub_f32_e32 v19, v16, v18
	v_mul_f32_e32 v16, 0x3fb8aa3b, v19
	v_fma_f32 v20, v19, s6, -v16
	v_rndne_f32_e32 v22, v16
	ds_bpermute_b32 v21, v17, v7
	v_fmac_f32_e32 v20, 0x32a5705f, v19
	v_sub_f32_e32 v16, v16, v22
	v_add_f32_e32 v16, v16, v20
	v_exp_f32_e32 v20, v16
	v_cvt_i32_f32_e32 v22, v22
	s_waitcnt lgkmcnt(0)
	v_cmp_lt_f32_e64 s[0:1], v7, v21
	v_cndmask_b32_e64 v16, v7, v21, s[0:1]
	v_cmp_ngt_f32_e64 s[0:1], s7, v19
	v_ldexp_f32 v7, v20, v22
	v_sub_f32_e32 v21, v15, v18
	v_cndmask_b32_e64 v20, 0, v7, s[0:1]
	v_mul_f32_e32 v7, 0x3fb8aa3b, v21
	v_fma_f32 v15, v21, s6, -v7
	v_rndne_f32_e32 v22, v7
	v_fmac_f32_e32 v15, 0x32a5705f, v21
	v_sub_f32_e32 v7, v7, v22
	v_add_f32_e32 v7, v7, v15
	v_exp_f32_e32 v23, v7
	v_cvt_i32_f32_e32 v22, v22
	v_mov_b32_e32 v7, 0x7f800000
	v_cmp_nlt_f32_e64 s[0:1], s10, v19
	v_cndmask_b32_e64 v15, v7, v20, s[0:1]
	v_sub_f32_e32 v20, v12, v18
	v_mul_f32_e32 v12, 0x3fb8aa3b, v20
	v_ldexp_f32 v19, v23, v22
	v_fma_f32 v22, v20, s6, -v12
	v_rndne_f32_e32 v23, v12
	v_fmac_f32_e32 v22, 0x32a5705f, v20
	v_sub_f32_e32 v12, v12, v23
	v_add_f32_e32 v12, v12, v22
	v_exp_f32_e32 v22, v12
	v_cvt_i32_f32_e32 v23, v23
	v_cmp_ngt_f32_e64 s[0:1], s7, v21
	v_sub_f32_e32 v10, v10, v18
	v_cndmask_b32_e64 v12, 0, v19, s[0:1]
	v_cmp_nlt_f32_e64 s[0:1], s10, v21
	v_mul_f32_e32 v21, 0x3fb8aa3b, v10
	v_ldexp_f32 v19, v22, v23
	v_fma_f32 v22, v10, s6, -v21
	v_rndne_f32_e32 v23, v21
	v_fmac_f32_e32 v22, 0x32a5705f, v10
	v_sub_f32_e32 v21, v21, v23
	v_add_f32_e32 v21, v21, v22
	v_exp_f32_e32 v21, v21
	v_cvt_i32_f32_e32 v22, v23
	v_cndmask_b32_e64 v12, v7, v12, s[0:1]
	v_cmp_ngt_f32_e64 s[0:1], s7, v20
	v_sub_f32_e32 v13, v13, v16
	v_cndmask_b32_e64 v19, 0, v19, s[0:1]
	v_cmp_nlt_f32_e64 s[0:1], s10, v20
	v_ldexp_f32 v20, v21, v22
	v_mul_f32_e32 v21, 0x3fb8aa3b, v13
	v_fma_f32 v22, v13, s6, -v21
	v_rndne_f32_e32 v23, v21
	v_fmac_f32_e32 v22, 0x32a5705f, v13
	v_sub_f32_e32 v21, v21, v23
	v_add_f32_e32 v21, v21, v22
	v_exp_f32_e32 v21, v21
	v_cvt_i32_f32_e32 v22, v23
	v_cmp_ngt_f32_e64 s[2:3], s7, v10
	v_cndmask_b32_e64 v20, 0, v20, s[2:3]
	v_cmp_nlt_f32_e64 s[2:3], s10, v10
	v_ldexp_f32 v10, v21, v22
	v_sub_f32_e32 v21, v14, v16
	v_mul_f32_e32 v14, 0x3fb8aa3b, v21
	v_fma_f32 v22, v21, s6, -v14
	v_rndne_f32_e32 v23, v14
	v_fmac_f32_e32 v22, 0x32a5705f, v21
	v_sub_f32_e32 v14, v14, v23
	v_add_f32_e32 v14, v14, v22
	v_cvt_i32_f32_e32 v22, v23
	v_sub_f32_e32 v23, v11, v16
	v_cmp_ngt_f32_e64 s[4:5], s7, v13
	v_mul_f32_e32 v11, 0x3fb8aa3b, v23
	v_exp_f32_e32 v14, v14
	v_cndmask_b32_e64 v10, 0, v10, s[4:5]
	v_cmp_nlt_f32_e64 s[4:5], s10, v13
	v_fma_f32 v13, v23, s6, -v11
	v_rndne_f32_e32 v24, v11
	v_fmac_f32_e32 v13, 0x32a5705f, v23
	v_sub_f32_e32 v11, v11, v24
	v_add_f32_e32 v25, v11, v13
	v_cndmask_b32_e64 v13, v7, v20, s[2:3]
	v_exp_f32_e32 v20, v25
	v_cvt_i32_f32_e32 v24, v24
	v_ldexp_f32 v22, v14, v22
	v_add_f32_e32 v11, v15, v12
	v_cndmask_b32_e64 v14, v7, v19, s[0:1]
	v_add_f32_e32 v11, v11, v14
	v_cmp_ngt_f32_e64 s[0:1], s7, v21
	v_add_f32_e32 v19, v11, v13
	v_cndmask_b32_e64 v11, v7, v10, s[4:5]
	v_cndmask_b32_e64 v10, 0, v22, s[0:1]
	v_cmp_nlt_f32_e64 s[0:1], s10, v21
	v_sub_f32_e32 v21, v9, v16
	v_cndmask_b32_e64 v10, v7, v10, s[0:1]
	v_ldexp_f32 v20, v20, v24
	v_cmp_ngt_f32_e64 s[0:1], s7, v23
	v_mul_f32_e32 v9, 0x3fb8aa3b, v21
	v_cndmask_b32_e64 v20, 0, v20, s[0:1]
	v_cmp_nlt_f32_e64 s[0:1], s10, v23
	v_fma_f32 v22, v21, s6, -v9
	v_rndne_f32_e32 v23, v9
	v_fmac_f32_e32 v22, 0x32a5705f, v21
	v_sub_f32_e32 v9, v9, v23
	v_add_f32_e32 v9, v9, v22
	v_exp_f32_e32 v22, v9
	v_cvt_i32_f32_e32 v23, v23
	v_cndmask_b32_e64 v9, v7, v20, s[0:1]
	v_cmp_ngt_f32_e64 s[0:1], s7, v21
	v_add_f32_e32 v24, v11, v10
	v_ldexp_f32 v22, v22, v23
	v_cndmask_b32_e64 v22, 0, v22, s[0:1]
	v_cmp_nlt_f32_e64 s[0:1], s10, v21
	v_add_f32_e32 v20, v24, v9
	v_cndmask_b32_e64 v7, v7, v22, s[0:1]
	v_add_f32_e32 v20, v20, v7
	ds_bpermute_b32 v21, v5, v19
	ds_bpermute_b32 v5, v5, v20
	s_waitcnt lgkmcnt(1)
	v_add_f32_e32 v19, v19, v21
	s_waitcnt lgkmcnt(0)
	v_add_f32_e32 v5, v20, v5
	ds_bpermute_b32 v20, v4, v19
	ds_bpermute_b32 v4, v4, v5
	s_waitcnt lgkmcnt(1)
	v_add_f32_e32 v19, v19, v20
	s_waitcnt lgkmcnt(0)
	;; [unrolled: 6-line block ×4, first 2 shown]
	v_add_f32_e32 v4, v1, v19
	ds_bpermute_b32 v19, v17, v6
	ds_bpermute_b32 v5, v17, v4
	s_and_saveexec_b64 s[0:1], vcc
	s_cbranch_execz .LBB7_35
; %bb.15:
	s_mov_b32 s0, 0xc61c4000
	v_cmp_neq_f32_e64 s[4:5], s0, v18
	v_cmp_neq_f32_e64 s[0:1], s0, v16
	v_mov_b32_e32 v16, s9
	v_add_co_u32_e32 v1, vcc, s8, v2
	v_addc_co_u32_e32 v2, vcc, v16, v3, vcc
	v_cmp_le_i32_e64 s[2:3], s14, v0
	v_cmp_gt_i32_e32 vcc, s14, v0
	s_and_saveexec_b64 s[6:7], vcc
	s_cbranch_execz .LBB7_25
; %bb.16:
	s_waitcnt lgkmcnt(1)
	v_add_f32_e32 v0, v6, v19
	v_mov_b32_e32 v3, 0
	v_mov_b32_e32 v6, 0
	s_and_saveexec_b64 s[8:9], s[4:5]
	s_cbranch_execz .LBB7_18
; %bb.17:
	v_div_scale_f32 v6, s[10:11], v0, v0, v15
	v_div_scale_f32 v16, vcc, v15, v0, v15
	v_rcp_f32_e32 v17, v6
	v_fma_f32 v18, -v6, v17, 1.0
	v_fmac_f32_e32 v17, v18, v17
	v_mul_f32_e32 v18, v16, v17
	v_fma_f32 v19, -v6, v18, v16
	v_fmac_f32_e32 v18, v19, v17
	v_fma_f32 v6, -v6, v18, v16
	v_div_fmas_f32 v6, v6, v17, v18
	v_div_fixup_f32 v6, v6, v0, v15
	v_cvt_f16_f32_e32 v6, v6
.LBB7_18:
	s_or_b64 exec, exec, s[8:9]
	s_and_saveexec_b64 s[8:9], s[4:5]
	s_cbranch_execz .LBB7_20
; %bb.19:
	v_div_scale_f32 v3, s[10:11], v0, v0, v12
	v_div_scale_f32 v15, vcc, v12, v0, v12
	v_rcp_f32_e32 v16, v3
	v_fma_f32 v17, -v3, v16, 1.0
	v_fmac_f32_e32 v16, v17, v16
	v_mul_f32_e32 v17, v15, v16
	v_fma_f32 v18, -v3, v17, v15
	v_fmac_f32_e32 v17, v18, v16
	v_fma_f32 v3, -v3, v17, v15
	v_div_fmas_f32 v3, v3, v16, v17
	v_div_fixup_f32 v3, v3, v0, v12
	v_cvt_f16_f32_e32 v3, v3
.LBB7_20:
	s_or_b64 exec, exec, s[8:9]
	v_mov_b32_e32 v12, 0
	v_mov_b32_e32 v15, 0
	s_and_saveexec_b64 s[8:9], s[4:5]
	s_cbranch_execz .LBB7_22
; %bb.21:
	v_div_scale_f32 v15, s[10:11], v0, v0, v14
	v_div_scale_f32 v16, vcc, v14, v0, v14
	v_rcp_f32_e32 v17, v15
	v_fma_f32 v18, -v15, v17, 1.0
	v_fmac_f32_e32 v17, v18, v17
	v_mul_f32_e32 v18, v16, v17
	v_fma_f32 v19, -v15, v18, v16
	v_fmac_f32_e32 v18, v19, v17
	v_fma_f32 v15, -v15, v18, v16
	v_div_fmas_f32 v15, v15, v17, v18
	v_div_fixup_f32 v14, v15, v0, v14
	v_cvt_f16_f32_e32 v15, v14
.LBB7_22:
	s_or_b64 exec, exec, s[8:9]
	s_and_saveexec_b64 s[8:9], s[4:5]
	s_cbranch_execz .LBB7_24
; %bb.23:
	v_div_scale_f32 v12, s[4:5], v0, v0, v13
	v_div_scale_f32 v14, vcc, v13, v0, v13
	v_rcp_f32_e32 v16, v12
	v_fma_f32 v17, -v12, v16, 1.0
	v_fmac_f32_e32 v16, v17, v16
	v_mul_f32_e32 v17, v14, v16
	v_fma_f32 v18, -v12, v17, v14
	v_fmac_f32_e32 v17, v18, v16
	v_fma_f32 v12, -v12, v17, v14
	v_div_fmas_f32 v12, v12, v16, v17
	v_div_fixup_f32 v0, v12, v0, v13
	v_cvt_f16_f32_e32 v12, v0
.LBB7_24:
	s_or_b64 exec, exec, s[8:9]
	s_mov_b32 s4, 0x5040100
	v_perm_b32 v13, v12, v15, s4
	v_perm_b32 v12, v3, v6, s4
	global_store_dwordx2 v[1:2], v[12:13], off
.LBB7_25:
	s_or_b64 exec, exec, s[6:7]
	v_cmp_ne_u32_e32 vcc, 1, v8
	s_xor_b64 s[2:3], s[2:3], -1
	s_and_b64 s[2:3], vcc, s[2:3]
	s_and_b64 exec, exec, s[2:3]
	s_cbranch_execz .LBB7_35
; %bb.26:
	s_waitcnt lgkmcnt(0)
	v_add_f32_e32 v0, v4, v5
	v_mov_b32_e32 v3, 0
	v_mov_b32_e32 v4, 0
	s_and_saveexec_b64 s[2:3], s[0:1]
	s_cbranch_execz .LBB7_28
; %bb.27:
	v_div_scale_f32 v4, s[4:5], v0, v0, v11
	v_div_scale_f32 v5, vcc, v11, v0, v11
	v_rcp_f32_e32 v6, v4
	v_fma_f32 v8, -v4, v6, 1.0
	v_fmac_f32_e32 v6, v8, v6
	v_mul_f32_e32 v8, v5, v6
	v_fma_f32 v12, -v4, v8, v5
	v_fmac_f32_e32 v8, v12, v6
	v_fma_f32 v4, -v4, v8, v5
	v_div_fmas_f32 v4, v4, v6, v8
	v_div_fixup_f32 v4, v4, v0, v11
	v_cvt_f16_f32_e32 v4, v4
.LBB7_28:
	s_or_b64 exec, exec, s[2:3]
	s_and_saveexec_b64 s[2:3], s[0:1]
	s_cbranch_execz .LBB7_30
; %bb.29:
	v_div_scale_f32 v3, s[4:5], v0, v0, v10
	v_div_scale_f32 v5, vcc, v10, v0, v10
	v_rcp_f32_e32 v6, v3
	v_fma_f32 v8, -v3, v6, 1.0
	v_fmac_f32_e32 v6, v8, v6
	v_mul_f32_e32 v8, v5, v6
	v_fma_f32 v11, -v3, v8, v5
	v_fmac_f32_e32 v8, v11, v6
	v_fma_f32 v3, -v3, v8, v5
	v_div_fmas_f32 v3, v3, v6, v8
	v_div_fixup_f32 v3, v3, v0, v10
	v_cvt_f16_f32_e32 v3, v3
.LBB7_30:
	s_or_b64 exec, exec, s[2:3]
	v_mov_b32_e32 v5, 0
	v_mov_b32_e32 v6, 0
	s_and_saveexec_b64 s[2:3], s[0:1]
	s_cbranch_execz .LBB7_32
; %bb.31:
	v_div_scale_f32 v6, s[4:5], v0, v0, v9
	v_div_scale_f32 v8, vcc, v9, v0, v9
	v_rcp_f32_e32 v10, v6
	v_fma_f32 v11, -v6, v10, 1.0
	v_fmac_f32_e32 v10, v11, v10
	v_mul_f32_e32 v11, v8, v10
	v_fma_f32 v12, -v6, v11, v8
	v_fmac_f32_e32 v11, v12, v10
	v_fma_f32 v6, -v6, v11, v8
	v_div_fmas_f32 v6, v6, v10, v11
	v_div_fixup_f32 v6, v6, v0, v9
	v_cvt_f16_f32_e32 v6, v6
.LBB7_32:
	s_or_b64 exec, exec, s[2:3]
	s_and_saveexec_b64 s[2:3], s[0:1]
	s_cbranch_execz .LBB7_34
; %bb.33:
	v_div_scale_f32 v5, s[0:1], v0, v0, v7
	v_div_scale_f32 v8, vcc, v7, v0, v7
	v_rcp_f32_e32 v9, v5
	v_fma_f32 v10, -v5, v9, 1.0
	v_fmac_f32_e32 v9, v10, v9
	v_mul_f32_e32 v10, v8, v9
	v_fma_f32 v11, -v5, v10, v8
	v_fmac_f32_e32 v10, v11, v9
	v_fma_f32 v5, -v5, v10, v8
	v_div_fmas_f32 v5, v5, v9, v10
	v_div_fixup_f32 v0, v5, v0, v7
	v_cvt_f16_f32_e32 v5, v0
.LBB7_34:
	s_or_b64 exec, exec, s[2:3]
	s_mov_b32 s15, 0
	s_lshl_b64 s[0:1], s[14:15], 1
	v_mov_b32_e32 v7, s1
	v_add_co_u32_e32 v0, vcc, s0, v1
	s_mov_b32 s0, 0x5040100
	v_addc_co_u32_e32 v1, vcc, v2, v7, vcc
	v_perm_b32 v5, v5, v6, s0
	v_perm_b32 v4, v3, v4, s0
	global_store_dwordx2 v[0:1], v[4:5], off
.LBB7_35:
	s_endpgm
	.section	.rodata,"a",@progbits
	.p2align	6, 0x0
	.amdhsa_kernel _Z34scaled_masked_softmax_warp_forwardI6__halfS0_fLi7EEvPT0_PKT_PKhT1_iii
		.amdhsa_group_segment_fixed_size 0
		.amdhsa_private_segment_fixed_size 0
		.amdhsa_kernarg_size 296
		.amdhsa_user_sgpr_count 6
		.amdhsa_user_sgpr_private_segment_buffer 1
		.amdhsa_user_sgpr_dispatch_ptr 0
		.amdhsa_user_sgpr_queue_ptr 0
		.amdhsa_user_sgpr_kernarg_segment_ptr 1
		.amdhsa_user_sgpr_dispatch_id 0
		.amdhsa_user_sgpr_flat_scratch_init 0
		.amdhsa_user_sgpr_private_segment_size 0
		.amdhsa_uses_dynamic_stack 0
		.amdhsa_system_sgpr_private_segment_wavefront_offset 0
		.amdhsa_system_sgpr_workgroup_id_x 1
		.amdhsa_system_sgpr_workgroup_id_y 1
		.amdhsa_system_sgpr_workgroup_id_z 1
		.amdhsa_system_sgpr_workgroup_info 0
		.amdhsa_system_vgpr_workitem_id 1
		.amdhsa_next_free_vgpr 26
		.amdhsa_next_free_sgpr 18
		.amdhsa_reserve_vcc 1
		.amdhsa_reserve_flat_scratch 0
		.amdhsa_float_round_mode_32 0
		.amdhsa_float_round_mode_16_64 0
		.amdhsa_float_denorm_mode_32 3
		.amdhsa_float_denorm_mode_16_64 3
		.amdhsa_dx10_clamp 1
		.amdhsa_ieee_mode 1
		.amdhsa_fp16_overflow 0
		.amdhsa_exception_fp_ieee_invalid_op 0
		.amdhsa_exception_fp_denorm_src 0
		.amdhsa_exception_fp_ieee_div_zero 0
		.amdhsa_exception_fp_ieee_overflow 0
		.amdhsa_exception_fp_ieee_underflow 0
		.amdhsa_exception_fp_ieee_inexact 0
		.amdhsa_exception_int_div_zero 0
	.end_amdhsa_kernel
	.section	.text._Z34scaled_masked_softmax_warp_forwardI6__halfS0_fLi7EEvPT0_PKT_PKhT1_iii,"axG",@progbits,_Z34scaled_masked_softmax_warp_forwardI6__halfS0_fLi7EEvPT0_PKT_PKhT1_iii,comdat
.Lfunc_end7:
	.size	_Z34scaled_masked_softmax_warp_forwardI6__halfS0_fLi7EEvPT0_PKT_PKhT1_iii, .Lfunc_end7-_Z34scaled_masked_softmax_warp_forwardI6__halfS0_fLi7EEvPT0_PKT_PKhT1_iii
                                        ; -- End function
	.set _Z34scaled_masked_softmax_warp_forwardI6__halfS0_fLi7EEvPT0_PKT_PKhT1_iii.num_vgpr, 26
	.set _Z34scaled_masked_softmax_warp_forwardI6__halfS0_fLi7EEvPT0_PKT_PKhT1_iii.num_agpr, 0
	.set _Z34scaled_masked_softmax_warp_forwardI6__halfS0_fLi7EEvPT0_PKT_PKhT1_iii.numbered_sgpr, 18
	.set _Z34scaled_masked_softmax_warp_forwardI6__halfS0_fLi7EEvPT0_PKT_PKhT1_iii.num_named_barrier, 0
	.set _Z34scaled_masked_softmax_warp_forwardI6__halfS0_fLi7EEvPT0_PKT_PKhT1_iii.private_seg_size, 0
	.set _Z34scaled_masked_softmax_warp_forwardI6__halfS0_fLi7EEvPT0_PKT_PKhT1_iii.uses_vcc, 1
	.set _Z34scaled_masked_softmax_warp_forwardI6__halfS0_fLi7EEvPT0_PKT_PKhT1_iii.uses_flat_scratch, 0
	.set _Z34scaled_masked_softmax_warp_forwardI6__halfS0_fLi7EEvPT0_PKT_PKhT1_iii.has_dyn_sized_stack, 0
	.set _Z34scaled_masked_softmax_warp_forwardI6__halfS0_fLi7EEvPT0_PKT_PKhT1_iii.has_recursion, 0
	.set _Z34scaled_masked_softmax_warp_forwardI6__halfS0_fLi7EEvPT0_PKT_PKhT1_iii.has_indirect_call, 0
	.section	.AMDGPU.csdata,"",@progbits
; Kernel info:
; codeLenInByte = 3112
; TotalNumSgprs: 22
; NumVgprs: 26
; ScratchSize: 0
; MemoryBound: 0
; FloatMode: 240
; IeeeMode: 1
; LDSByteSize: 0 bytes/workgroup (compile time only)
; SGPRBlocks: 2
; VGPRBlocks: 6
; NumSGPRsForWavesPerEU: 22
; NumVGPRsForWavesPerEU: 26
; Occupancy: 9
; WaveLimiterHint : 0
; COMPUTE_PGM_RSRC2:SCRATCH_EN: 0
; COMPUTE_PGM_RSRC2:USER_SGPR: 6
; COMPUTE_PGM_RSRC2:TRAP_HANDLER: 0
; COMPUTE_PGM_RSRC2:TGID_X_EN: 1
; COMPUTE_PGM_RSRC2:TGID_Y_EN: 1
; COMPUTE_PGM_RSRC2:TGID_Z_EN: 1
; COMPUTE_PGM_RSRC2:TIDIG_COMP_CNT: 1
	.section	.text._Z34scaled_masked_softmax_warp_forwardI6__halfS0_fLi8EEvPT0_PKT_PKhT1_iii,"axG",@progbits,_Z34scaled_masked_softmax_warp_forwardI6__halfS0_fLi8EEvPT0_PKT_PKhT1_iii,comdat
	.protected	_Z34scaled_masked_softmax_warp_forwardI6__halfS0_fLi8EEvPT0_PKT_PKhT1_iii ; -- Begin function _Z34scaled_masked_softmax_warp_forwardI6__halfS0_fLi8EEvPT0_PKT_PKhT1_iii
	.globl	_Z34scaled_masked_softmax_warp_forwardI6__halfS0_fLi8EEvPT0_PKT_PKhT1_iii
	.p2align	8
	.type	_Z34scaled_masked_softmax_warp_forwardI6__halfS0_fLi8EEvPT0_PKT_PKhT1_iii,@function
_Z34scaled_masked_softmax_warp_forwardI6__halfS0_fLi8EEvPT0_PKT_PKhT1_iii: ; @_Z34scaled_masked_softmax_warp_forwardI6__halfS0_fLi8EEvPT0_PKT_PKhT1_iii
; %bb.0:
	s_load_dword s2, s[4:5], 0x34
	s_load_dwordx4 s[12:15], s[4:5], 0x18
	s_load_dwordx2 s[0:1], s[4:5], 0x28
	s_mov_b32 s9, s6
	s_waitcnt lgkmcnt(0)
	s_lshr_b32 s2, s2, 16
	s_cmp_eq_u32 s15, 1
	s_cbranch_scc1 .LBB8_2
; %bb.1:
	s_mul_i32 s3, s0, s8
	s_add_i32 s9, s3, s6
.LBB8_2:
	s_mul_i32 s1, s1, s8
	s_add_i32 s1, s1, s7
	s_mul_i32 s0, s0, s1
	s_and_b32 s10, 0xffff, s2
	s_add_i32 s0, s0, s6
	s_mul_i32 s0, s0, s10
	v_add_u32_e32 v4, s0, v1
	v_lshlrev_b32_e32 v0, 2, v0
	v_mad_u64_u32 v[2:3], s[0:1], v4, s14, v[0:1]
	s_load_dwordx4 s[16:19], s[4:5], 0x0
	s_load_dwordx2 s[6:7], s[4:5], 0x10
	v_cmp_gt_i32_e32 vcc, s13, v4
	v_ashrrev_i32_e32 v3, 31, v2
	v_lshlrev_b64 v[2:3], 1, v[2:3]
                                        ; implicit-def: $vgpr11
                                        ; implicit-def: $vgpr12
                                        ; implicit-def: $vgpr10
                                        ; implicit-def: $vgpr8
                                        ; implicit-def: $vgpr13
                                        ; implicit-def: $vgpr15
                                        ; implicit-def: $vgpr14
                                        ; implicit-def: $vgpr9
	s_and_saveexec_b64 s[2:3], vcc
	s_cbranch_execz .LBB8_12
; %bb.3:
	s_mul_i32 s0, s9, s10
	v_add_u32_e32 v1, s0, v1
	v_mad_u64_u32 v[6:7], s[0:1], v1, s14, v[0:1]
	s_waitcnt lgkmcnt(0)
	v_mov_b32_e32 v5, s19
	v_add_co_u32_e64 v4, s[0:1], s18, v2
	v_addc_co_u32_e64 v5, s[0:1], v5, v3, s[0:1]
	v_ashrrev_i32_e32 v1, 31, v6
	v_mov_b32_e32 v7, s7
	v_add_co_u32_e64 v6, s[0:1], s6, v6
	v_addc_co_u32_e64 v7, s[0:1], v7, v1, s[0:1]
	v_cmp_gt_i32_e64 s[0:1], s14, v0
	v_mov_b32_e32 v11, 0xff800000
	v_mov_b32_e32 v12, 0xff800000
	;; [unrolled: 1-line block ×4, first 2 shown]
	s_and_saveexec_b64 s[4:5], s[0:1]
	s_cbranch_execz .LBB8_7
; %bb.4:
	global_load_dword v1, v[6:7], off
	global_load_dword v12, v[4:5], off offset:2
	global_load_ushort v10, v[4:5], off offset:6
	v_mov_b32_e32 v8, 1
	s_movk_i32 s6, 0xff
	v_mov_b32_e32 v9, 0xc61c4000
	v_mov_b32_e32 v11, 0xc61c4000
	s_waitcnt vmcnt(2)
	v_lshrrev_b32_e32 v13, 8, v1
	v_cmp_ne_u16_sdwa s[8:9], v1, v8 src0_sel:BYTE_0 src1_sel:DWORD
	s_and_saveexec_b64 s[0:1], s[8:9]
	s_cbranch_execz .LBB8_6
; %bb.5:
	global_load_ushort v11, v[4:5], off
	s_waitcnt vmcnt(0)
	v_cvt_f32_f16_e32 v11, v11
	v_mul_f32_e32 v11, s12, v11
.LBB8_6:
	s_or_b64 exec, exec, s[0:1]
	s_waitcnt vmcnt(1)
	v_cvt_f32_f16_e32 v14, v12
	v_cvt_f32_f16_sdwa v16, v12 dst_sel:DWORD dst_unused:UNUSED_PAD src0_sel:WORD_1
	v_cmp_ne_u16_sdwa s[0:1], v13, v8 src0_sel:BYTE_0 src1_sel:DWORD
	s_waitcnt vmcnt(0)
	v_cvt_f32_f16_e32 v13, v10
	v_and_b32_sdwa v15, v1, s6 dst_sel:DWORD dst_unused:UNUSED_PAD src0_sel:WORD_1 src1_sel:DWORD
	v_mul_f32_e32 v12, s12, v14
	v_cndmask_b32_e64 v12, v9, v12, s[0:1]
	v_mul_f32_e32 v10, s12, v16
	v_cmp_ne_u16_e64 s[0:1], 1, v15
	v_cndmask_b32_e64 v10, v9, v10, s[0:1]
	v_mul_f32_e32 v13, s12, v13
	v_cmp_ne_u16_sdwa s[0:1], v1, v8 src0_sel:BYTE_3 src1_sel:DWORD
	v_cndmask_b32_e64 v8, v9, v13, s[0:1]
.LBB8_7:
	s_or_b64 exec, exec, s[4:5]
	v_add_u32_e32 v1, 0x80, v0
	v_cmp_gt_i32_e64 s[0:1], s14, v1
	v_mov_b32_e32 v13, 0xff800000
	v_mov_b32_e32 v15, 0xff800000
	;; [unrolled: 1-line block ×4, first 2 shown]
	s_and_saveexec_b64 s[4:5], s[0:1]
	s_cbranch_execz .LBB8_11
; %bb.8:
	global_load_dword v1, v[6:7], off offset:128
	global_load_dword v14, v[4:5], off offset:258
	global_load_ushort v9, v[4:5], off offset:262
	v_mov_b32_e32 v6, 1
	s_movk_i32 s6, 0xff
	v_mov_b32_e32 v7, 0xc61c4000
	v_mov_b32_e32 v13, 0xc61c4000
	s_waitcnt vmcnt(2)
	v_lshrrev_b32_e32 v15, 8, v1
	v_cmp_ne_u16_sdwa s[8:9], v1, v6 src0_sel:BYTE_0 src1_sel:DWORD
	s_and_saveexec_b64 s[0:1], s[8:9]
	s_cbranch_execz .LBB8_10
; %bb.9:
	global_load_ushort v4, v[4:5], off offset:256
	s_waitcnt vmcnt(0)
	v_cvt_f32_f16_e32 v4, v4
	v_mul_f32_e32 v13, s12, v4
.LBB8_10:
	s_or_b64 exec, exec, s[0:1]
	s_waitcnt vmcnt(1)
	v_cvt_f32_f16_e32 v4, v14
	v_cvt_f32_f16_sdwa v14, v14 dst_sel:DWORD dst_unused:UNUSED_PAD src0_sel:WORD_1
	v_cmp_ne_u16_sdwa s[0:1], v15, v6 src0_sel:BYTE_0 src1_sel:DWORD
	v_and_b32_sdwa v5, v1, s6 dst_sel:DWORD dst_unused:UNUSED_PAD src0_sel:WORD_1 src1_sel:DWORD
	v_mul_f32_e32 v4, s12, v4
	v_cndmask_b32_e64 v15, v7, v4, s[0:1]
	s_waitcnt vmcnt(0)
	v_cvt_f32_f16_e32 v4, v9
	v_mul_f32_e32 v9, s12, v14
	v_cmp_ne_u16_e64 s[0:1], 1, v5
	v_cndmask_b32_e64 v14, v7, v9, s[0:1]
	v_mul_f32_e32 v4, s12, v4
	v_cmp_ne_u16_sdwa s[0:1], v1, v6 src0_sel:BYTE_3 src1_sel:DWORD
	v_cndmask_b32_e64 v9, v7, v4, s[0:1]
.LBB8_11:
	s_or_b64 exec, exec, s[4:5]
.LBB8_12:
	s_or_b64 exec, exec, s[2:3]
	v_cmp_gt_f32_e64 s[0:1], v11, v12
	v_cndmask_b32_e64 v1, v12, v11, s[0:1]
	v_cmp_gt_f32_e64 s[0:1], v1, v10
	v_cndmask_b32_e64 v1, v10, v1, s[0:1]
	v_cmp_gt_f32_e64 s[0:1], v1, v8
	v_cndmask_b32_e64 v1, v8, v1, s[0:1]
	v_cmp_gt_f32_e64 s[0:1], v1, v13
	v_cndmask_b32_e64 v1, v13, v1, s[0:1]
	v_cmp_gt_f32_e64 s[0:1], v1, v15
	v_cndmask_b32_e64 v1, v15, v1, s[0:1]
	v_cmp_gt_f32_e64 s[0:1], v1, v14
	v_cndmask_b32_e64 v1, v14, v1, s[0:1]
	v_cmp_gt_f32_e64 s[0:1], v1, v9
	v_cndmask_b32_e64 v4, v9, v1, s[0:1]
	v_mbcnt_lo_u32_b32 v1, -1, 0
	v_mbcnt_hi_u32_b32 v6, -1, v1
	v_and_b32_e32 v1, 0x60, v6
	v_add_u32_e32 v7, 32, v1
	v_xor_b32_e32 v1, 16, v6
	v_cmp_lt_i32_e64 s[0:1], v1, v7
	v_cndmask_b32_e64 v1, v6, v1, s[0:1]
	v_lshlrev_b32_e32 v1, 2, v1
	ds_bpermute_b32 v5, v1, v4
	s_mov_b32 s10, 0x3fb8aa3b
	s_mov_b32 s11, 0xc2ce8ed0
	;; [unrolled: 1-line block ×3, first 2 shown]
	s_waitcnt lgkmcnt(0)
	v_cmp_lt_f32_e64 s[0:1], v4, v5
	v_cndmask_b32_e64 v4, v4, v5, s[0:1]
	v_xor_b32_e32 v5, 8, v6
	v_cmp_lt_i32_e64 s[0:1], v5, v7
	v_cndmask_b32_e64 v5, v6, v5, s[0:1]
	v_lshlrev_b32_e32 v5, 2, v5
	ds_bpermute_b32 v16, v5, v4
	s_waitcnt lgkmcnt(0)
	v_cmp_lt_f32_e64 s[0:1], v4, v16
	v_cndmask_b32_e64 v4, v4, v16, s[0:1]
	v_xor_b32_e32 v16, 4, v6
	v_cmp_lt_i32_e64 s[0:1], v16, v7
	v_cndmask_b32_e64 v16, v6, v16, s[0:1]
	v_lshlrev_b32_e32 v16, 2, v16
	ds_bpermute_b32 v17, v16, v4
	;; [unrolled: 8-line block ×4, first 2 shown]
	s_waitcnt lgkmcnt(0)
	v_cmp_lt_f32_e64 s[0:1], v4, v6
	v_cndmask_b32_e64 v17, v4, v6, s[0:1]
	v_sub_f32_e32 v4, v11, v17
	v_mul_f32_e32 v6, 0x3fb8aa3b, v4
	v_fma_f32 v7, v4, s10, -v6
	v_rndne_f32_e32 v11, v6
	v_fmac_f32_e32 v7, 0x32a5705f, v4
	v_sub_f32_e32 v6, v6, v11
	v_add_f32_e32 v6, v6, v7
	v_exp_f32_e32 v6, v6
	v_cvt_i32_f32_e32 v7, v11
	v_cmp_ngt_f32_e64 s[8:9], s11, v4
	v_ldexp_f32 v6, v6, v7
	v_sub_f32_e32 v7, v12, v17
	v_mul_f32_e32 v11, 0x3fb8aa3b, v7
	v_fma_f32 v12, v7, s10, -v11
	v_rndne_f32_e32 v20, v11
	v_fmac_f32_e32 v12, 0x32a5705f, v7
	v_sub_f32_e32 v11, v11, v20
	v_add_f32_e32 v11, v11, v12
	v_exp_f32_e32 v11, v11
	v_cvt_i32_f32_e32 v12, v20
	v_cmp_ngt_f32_e64 s[0:1], s11, v7
	v_mov_b32_e32 v20, 0x7f800000
	v_cndmask_b32_e64 v6, 0, v6, s[8:9]
	v_ldexp_f32 v11, v11, v12
	v_cndmask_b32_e64 v11, 0, v11, s[0:1]
	v_cmp_nlt_f32_e64 s[0:1], s12, v7
	v_sub_f32_e32 v7, v10, v17
	v_mul_f32_e32 v10, 0x3fb8aa3b, v7
	v_fma_f32 v12, v7, s10, -v10
	v_rndne_f32_e32 v21, v10
	v_fmac_f32_e32 v12, 0x32a5705f, v7
	v_sub_f32_e32 v10, v10, v21
	v_add_f32_e32 v10, v10, v12
	v_exp_f32_e32 v10, v10
	v_cvt_i32_f32_e32 v12, v21
	v_cmp_ngt_f32_e64 s[2:3], s11, v7
	v_cmp_nlt_f32_e64 s[8:9], s12, v4
	v_cndmask_b32_e64 v11, v20, v11, s[0:1]
	v_ldexp_f32 v10, v10, v12
	v_cndmask_b32_e64 v10, 0, v10, s[2:3]
	v_cmp_nlt_f32_e64 s[2:3], s12, v7
	v_sub_f32_e32 v7, v8, v17
	v_mul_f32_e32 v8, 0x3fb8aa3b, v7
	v_fma_f32 v12, v7, s10, -v8
	v_rndne_f32_e32 v21, v8
	v_fmac_f32_e32 v12, 0x32a5705f, v7
	v_sub_f32_e32 v8, v8, v21
	v_add_f32_e32 v8, v8, v12
	v_exp_f32_e32 v8, v8
	v_cvt_i32_f32_e32 v12, v21
	v_cmp_ngt_f32_e64 s[4:5], s11, v7
	v_cndmask_b32_e64 v10, v20, v10, s[2:3]
	v_ldexp_f32 v8, v8, v12
	v_cndmask_b32_e64 v8, 0, v8, s[4:5]
	v_cmp_nlt_f32_e64 s[4:5], s12, v7
	v_sub_f32_e32 v7, v13, v17
	v_mul_f32_e32 v12, 0x3fb8aa3b, v7
	v_fma_f32 v13, v7, s10, -v12
	v_rndne_f32_e32 v21, v12
	v_fmac_f32_e32 v13, 0x32a5705f, v7
	v_sub_f32_e32 v12, v12, v21
	v_add_f32_e32 v12, v12, v13
	v_exp_f32_e32 v12, v12
	v_cvt_i32_f32_e32 v13, v21
	v_cmp_ngt_f32_e64 s[6:7], s11, v7
	v_ldexp_f32 v12, v12, v13
	v_cndmask_b32_e64 v12, 0, v12, s[6:7]
	v_cmp_nlt_f32_e64 s[6:7], s12, v7
	v_sub_f32_e32 v7, v15, v17
	v_mul_f32_e32 v13, 0x3fb8aa3b, v7
	v_fma_f32 v15, v7, s10, -v13
	v_rndne_f32_e32 v21, v13
	v_fmac_f32_e32 v15, 0x32a5705f, v7
	v_sub_f32_e32 v13, v13, v21
	v_add_f32_e32 v13, v13, v15
	v_exp_f32_e32 v13, v13
	v_cvt_i32_f32_e32 v15, v21
	v_cmp_ngt_f32_e64 s[0:1], s11, v7
	v_ldexp_f32 v13, v13, v15
	v_sub_f32_e32 v15, v14, v17
	v_mul_f32_e32 v14, 0x3fb8aa3b, v15
	v_fma_f32 v21, v15, s10, -v14
	v_rndne_f32_e32 v22, v14
	v_fmac_f32_e32 v21, 0x32a5705f, v15
	v_sub_f32_e32 v14, v14, v22
	v_add_f32_e32 v21, v14, v21
	v_cndmask_b32_e64 v14, v20, v6, s[8:9]
	v_exp_f32_e32 v4, v21
	v_cvt_i32_f32_e32 v6, v22
	v_cmp_ngt_f32_e64 s[8:9], s11, v15
	v_cndmask_b32_e64 v13, 0, v13, s[0:1]
	v_cmp_nlt_f32_e64 s[0:1], s12, v7
	v_ldexp_f32 v4, v4, v6
	v_cndmask_b32_e64 v4, 0, v4, s[8:9]
	v_cmp_nlt_f32_e64 s[8:9], s12, v15
	v_sub_f32_e32 v15, v9, v17
	v_mul_f32_e32 v6, 0x3fb8aa3b, v15
	v_fma_f32 v7, v15, s10, -v6
	v_rndne_f32_e32 v21, v6
	v_fmac_f32_e32 v7, 0x32a5705f, v15
	v_sub_f32_e32 v6, v6, v21
	v_add_f32_e32 v6, v6, v7
	v_add_f32_e32 v7, v14, v11
	;; [unrolled: 1-line block ×3, first 2 shown]
	v_cndmask_b32_e64 v9, v20, v8, s[4:5]
	v_add_f32_e32 v7, v7, v9
	v_cndmask_b32_e64 v8, v20, v12, s[6:7]
	v_add_f32_e32 v12, v7, v8
	v_cndmask_b32_e64 v7, v20, v13, s[0:1]
	v_exp_f32_e32 v13, v6
	v_cvt_i32_f32_e32 v21, v21
	v_cndmask_b32_e64 v6, v20, v4, s[8:9]
	v_cmp_ngt_f32_e64 s[0:1], s11, v15
	v_add_f32_e32 v12, v12, v7
	v_ldexp_f32 v4, v13, v21
	v_cndmask_b32_e64 v4, 0, v4, s[0:1]
	v_cmp_nlt_f32_e64 s[0:1], s12, v15
	v_add_f32_e32 v12, v12, v6
	v_cndmask_b32_e64 v4, v20, v4, s[0:1]
	v_add_f32_e32 v12, v12, v4
	ds_bpermute_b32 v1, v1, v12
	v_cmp_gt_i32_e64 s[0:1], s14, v0
	s_and_b64 s[0:1], vcc, s[0:1]
	s_waitcnt lgkmcnt(0)
	v_add_f32_e32 v1, v12, v1
	ds_bpermute_b32 v5, v5, v1
	s_waitcnt lgkmcnt(0)
	v_add_f32_e32 v1, v1, v5
	ds_bpermute_b32 v5, v16, v1
	;; [unrolled: 3-line block ×4, first 2 shown]
	s_and_saveexec_b64 s[2:3], s[0:1]
	s_cbranch_execz .LBB8_31
; %bb.13:
	s_mov_b32 s0, 0xc61c4000
	v_cmp_neq_f32_e64 s[0:1], s0, v17
	s_waitcnt lgkmcnt(0)
	v_add_f32_e32 v5, v1, v5
	v_mov_b32_e32 v12, 0
	v_mov_b32_e32 v13, 0
	s_and_saveexec_b64 s[2:3], s[0:1]
	s_cbranch_execz .LBB8_15
; %bb.14:
	v_div_scale_f32 v1, s[4:5], v5, v5, v14
	v_div_scale_f32 v13, vcc, v14, v5, v14
	v_rcp_f32_e32 v15, v1
	v_fma_f32 v16, -v1, v15, 1.0
	v_fmac_f32_e32 v15, v16, v15
	v_mul_f32_e32 v16, v13, v15
	v_fma_f32 v17, -v1, v16, v13
	v_fmac_f32_e32 v16, v17, v15
	v_fma_f32 v1, -v1, v16, v13
	v_div_fmas_f32 v1, v1, v15, v16
	v_div_fixup_f32 v1, v1, v5, v14
	v_cvt_f16_f32_e32 v13, v1
.LBB8_15:
	s_or_b64 exec, exec, s[2:3]
	s_and_saveexec_b64 s[2:3], s[0:1]
	s_cbranch_execz .LBB8_17
; %bb.16:
	v_div_scale_f32 v1, s[4:5], v5, v5, v11
	v_div_scale_f32 v12, vcc, v11, v5, v11
	v_rcp_f32_e32 v14, v1
	v_fma_f32 v15, -v1, v14, 1.0
	v_fmac_f32_e32 v14, v15, v14
	v_mul_f32_e32 v15, v12, v14
	v_fma_f32 v16, -v1, v15, v12
	v_fmac_f32_e32 v15, v16, v14
	v_fma_f32 v1, -v1, v15, v12
	v_div_fmas_f32 v1, v1, v14, v15
	v_div_fixup_f32 v1, v1, v5, v11
	v_cvt_f16_f32_e32 v12, v1
.LBB8_17:
	s_or_b64 exec, exec, s[2:3]
	v_mov_b32_e32 v11, 0
	v_mov_b32_e32 v14, 0
	s_and_saveexec_b64 s[2:3], s[0:1]
	s_cbranch_execz .LBB8_19
; %bb.18:
	v_div_scale_f32 v1, s[4:5], v5, v5, v10
	v_div_scale_f32 v14, vcc, v10, v5, v10
	v_rcp_f32_e32 v15, v1
	v_fma_f32 v16, -v1, v15, 1.0
	v_fmac_f32_e32 v15, v16, v15
	v_mul_f32_e32 v16, v14, v15
	v_fma_f32 v17, -v1, v16, v14
	v_fmac_f32_e32 v16, v17, v15
	v_fma_f32 v1, -v1, v16, v14
	v_div_fmas_f32 v1, v1, v15, v16
	v_div_fixup_f32 v1, v1, v5, v10
	v_cvt_f16_f32_e32 v14, v1
.LBB8_19:
	s_or_b64 exec, exec, s[2:3]
	s_and_saveexec_b64 s[2:3], s[0:1]
	s_cbranch_execz .LBB8_21
; %bb.20:
	v_div_scale_f32 v1, s[4:5], v5, v5, v9
	v_div_scale_f32 v10, vcc, v9, v5, v9
	v_rcp_f32_e32 v11, v1
	v_fma_f32 v15, -v1, v11, 1.0
	v_fmac_f32_e32 v11, v15, v11
	v_mul_f32_e32 v15, v10, v11
	v_fma_f32 v16, -v1, v15, v10
	v_fmac_f32_e32 v15, v16, v11
	v_fma_f32 v1, -v1, v15, v10
	v_div_fmas_f32 v1, v1, v11, v15
	v_div_fixup_f32 v1, v1, v5, v9
	v_cvt_f16_f32_e32 v11, v1
.LBB8_21:
	s_or_b64 exec, exec, s[2:3]
	v_mov_b32_e32 v9, s17
	v_add_co_u32_e32 v1, vcc, s16, v2
	v_addc_co_u32_e32 v2, vcc, v9, v3, vcc
	s_mov_b32 s2, 0x5040100
	v_add_u32_e32 v0, 0x80, v0
	v_perm_b32 v10, v11, v14, s2
	v_perm_b32 v9, v12, v13, s2
	v_cmp_gt_u32_e32 vcc, s14, v0
	global_store_dwordx2 v[1:2], v[9:10], off
	s_and_b64 exec, exec, vcc
	s_cbranch_execz .LBB8_31
; %bb.22:
	v_mov_b32_e32 v0, 0
	v_mov_b32_e32 v3, 0
	s_and_saveexec_b64 s[2:3], s[0:1]
	s_cbranch_execz .LBB8_24
; %bb.23:
	v_div_scale_f32 v3, s[4:5], v5, v5, v8
	v_div_scale_f32 v9, vcc, v8, v5, v8
	v_rcp_f32_e32 v10, v3
	v_fma_f32 v11, -v3, v10, 1.0
	v_fmac_f32_e32 v10, v11, v10
	v_mul_f32_e32 v11, v9, v10
	v_fma_f32 v12, -v3, v11, v9
	v_fmac_f32_e32 v11, v12, v10
	v_fma_f32 v3, -v3, v11, v9
	v_div_fmas_f32 v3, v3, v10, v11
	v_div_fixup_f32 v3, v3, v5, v8
	v_cvt_f16_f32_e32 v3, v3
.LBB8_24:
	s_or_b64 exec, exec, s[2:3]
	s_and_saveexec_b64 s[2:3], s[0:1]
	s_cbranch_execz .LBB8_26
; %bb.25:
	v_div_scale_f32 v0, s[4:5], v5, v5, v7
	v_div_scale_f32 v8, vcc, v7, v5, v7
	v_rcp_f32_e32 v9, v0
	v_fma_f32 v10, -v0, v9, 1.0
	v_fmac_f32_e32 v9, v10, v9
	v_mul_f32_e32 v10, v8, v9
	v_fma_f32 v11, -v0, v10, v8
	v_fmac_f32_e32 v10, v11, v9
	v_fma_f32 v0, -v0, v10, v8
	v_div_fmas_f32 v0, v0, v9, v10
	v_div_fixup_f32 v0, v0, v5, v7
	v_cvt_f16_f32_e32 v0, v0
.LBB8_26:
	s_or_b64 exec, exec, s[2:3]
	v_mov_b32_e32 v7, 0
	v_mov_b32_e32 v8, 0
	s_and_saveexec_b64 s[2:3], s[0:1]
	s_cbranch_execz .LBB8_28
; %bb.27:
	v_div_scale_f32 v8, s[4:5], v5, v5, v6
	v_div_scale_f32 v9, vcc, v6, v5, v6
	v_rcp_f32_e32 v10, v8
	v_fma_f32 v11, -v8, v10, 1.0
	v_fmac_f32_e32 v10, v11, v10
	v_mul_f32_e32 v11, v9, v10
	v_fma_f32 v12, -v8, v11, v9
	v_fmac_f32_e32 v11, v12, v10
	v_fma_f32 v8, -v8, v11, v9
	v_div_fmas_f32 v8, v8, v10, v11
	v_div_fixup_f32 v6, v8, v5, v6
	v_cvt_f16_f32_e32 v8, v6
.LBB8_28:
	s_or_b64 exec, exec, s[2:3]
	s_and_saveexec_b64 s[2:3], s[0:1]
	s_cbranch_execz .LBB8_30
; %bb.29:
	v_div_scale_f32 v6, s[0:1], v5, v5, v4
	v_div_scale_f32 v7, vcc, v4, v5, v4
	v_rcp_f32_e32 v9, v6
	v_fma_f32 v10, -v6, v9, 1.0
	v_fmac_f32_e32 v9, v10, v9
	v_mul_f32_e32 v10, v7, v9
	v_fma_f32 v11, -v6, v10, v7
	v_fmac_f32_e32 v10, v11, v9
	v_fma_f32 v6, -v6, v10, v7
	v_div_fmas_f32 v6, v6, v9, v10
	v_div_fixup_f32 v4, v6, v5, v4
	v_cvt_f16_f32_e32 v7, v4
.LBB8_30:
	s_or_b64 exec, exec, s[2:3]
	s_mov_b32 s0, 0x5040100
	v_perm_b32 v4, v7, v8, s0
	v_perm_b32 v3, v0, v3, s0
	global_store_dwordx2 v[1:2], v[3:4], off offset:256
.LBB8_31:
	s_endpgm
	.section	.rodata,"a",@progbits
	.p2align	6, 0x0
	.amdhsa_kernel _Z34scaled_masked_softmax_warp_forwardI6__halfS0_fLi8EEvPT0_PKT_PKhT1_iii
		.amdhsa_group_segment_fixed_size 0
		.amdhsa_private_segment_fixed_size 0
		.amdhsa_kernarg_size 296
		.amdhsa_user_sgpr_count 6
		.amdhsa_user_sgpr_private_segment_buffer 1
		.amdhsa_user_sgpr_dispatch_ptr 0
		.amdhsa_user_sgpr_queue_ptr 0
		.amdhsa_user_sgpr_kernarg_segment_ptr 1
		.amdhsa_user_sgpr_dispatch_id 0
		.amdhsa_user_sgpr_flat_scratch_init 0
		.amdhsa_user_sgpr_private_segment_size 0
		.amdhsa_uses_dynamic_stack 0
		.amdhsa_system_sgpr_private_segment_wavefront_offset 0
		.amdhsa_system_sgpr_workgroup_id_x 1
		.amdhsa_system_sgpr_workgroup_id_y 1
		.amdhsa_system_sgpr_workgroup_id_z 1
		.amdhsa_system_sgpr_workgroup_info 0
		.amdhsa_system_vgpr_workitem_id 1
		.amdhsa_next_free_vgpr 23
		.amdhsa_next_free_sgpr 20
		.amdhsa_reserve_vcc 1
		.amdhsa_reserve_flat_scratch 0
		.amdhsa_float_round_mode_32 0
		.amdhsa_float_round_mode_16_64 0
		.amdhsa_float_denorm_mode_32 3
		.amdhsa_float_denorm_mode_16_64 3
		.amdhsa_dx10_clamp 1
		.amdhsa_ieee_mode 1
		.amdhsa_fp16_overflow 0
		.amdhsa_exception_fp_ieee_invalid_op 0
		.amdhsa_exception_fp_denorm_src 0
		.amdhsa_exception_fp_ieee_div_zero 0
		.amdhsa_exception_fp_ieee_overflow 0
		.amdhsa_exception_fp_ieee_underflow 0
		.amdhsa_exception_fp_ieee_inexact 0
		.amdhsa_exception_int_div_zero 0
	.end_amdhsa_kernel
	.section	.text._Z34scaled_masked_softmax_warp_forwardI6__halfS0_fLi8EEvPT0_PKT_PKhT1_iii,"axG",@progbits,_Z34scaled_masked_softmax_warp_forwardI6__halfS0_fLi8EEvPT0_PKT_PKhT1_iii,comdat
.Lfunc_end8:
	.size	_Z34scaled_masked_softmax_warp_forwardI6__halfS0_fLi8EEvPT0_PKT_PKhT1_iii, .Lfunc_end8-_Z34scaled_masked_softmax_warp_forwardI6__halfS0_fLi8EEvPT0_PKT_PKhT1_iii
                                        ; -- End function
	.set _Z34scaled_masked_softmax_warp_forwardI6__halfS0_fLi8EEvPT0_PKT_PKhT1_iii.num_vgpr, 23
	.set _Z34scaled_masked_softmax_warp_forwardI6__halfS0_fLi8EEvPT0_PKT_PKhT1_iii.num_agpr, 0
	.set _Z34scaled_masked_softmax_warp_forwardI6__halfS0_fLi8EEvPT0_PKT_PKhT1_iii.numbered_sgpr, 20
	.set _Z34scaled_masked_softmax_warp_forwardI6__halfS0_fLi8EEvPT0_PKT_PKhT1_iii.num_named_barrier, 0
	.set _Z34scaled_masked_softmax_warp_forwardI6__halfS0_fLi8EEvPT0_PKT_PKhT1_iii.private_seg_size, 0
	.set _Z34scaled_masked_softmax_warp_forwardI6__halfS0_fLi8EEvPT0_PKT_PKhT1_iii.uses_vcc, 1
	.set _Z34scaled_masked_softmax_warp_forwardI6__halfS0_fLi8EEvPT0_PKT_PKhT1_iii.uses_flat_scratch, 0
	.set _Z34scaled_masked_softmax_warp_forwardI6__halfS0_fLi8EEvPT0_PKT_PKhT1_iii.has_dyn_sized_stack, 0
	.set _Z34scaled_masked_softmax_warp_forwardI6__halfS0_fLi8EEvPT0_PKT_PKhT1_iii.has_recursion, 0
	.set _Z34scaled_masked_softmax_warp_forwardI6__halfS0_fLi8EEvPT0_PKT_PKhT1_iii.has_indirect_call, 0
	.section	.AMDGPU.csdata,"",@progbits
; Kernel info:
; codeLenInByte = 2808
; TotalNumSgprs: 24
; NumVgprs: 23
; ScratchSize: 0
; MemoryBound: 0
; FloatMode: 240
; IeeeMode: 1
; LDSByteSize: 0 bytes/workgroup (compile time only)
; SGPRBlocks: 2
; VGPRBlocks: 5
; NumSGPRsForWavesPerEU: 24
; NumVGPRsForWavesPerEU: 23
; Occupancy: 10
; WaveLimiterHint : 0
; COMPUTE_PGM_RSRC2:SCRATCH_EN: 0
; COMPUTE_PGM_RSRC2:USER_SGPR: 6
; COMPUTE_PGM_RSRC2:TRAP_HANDLER: 0
; COMPUTE_PGM_RSRC2:TGID_X_EN: 1
; COMPUTE_PGM_RSRC2:TGID_Y_EN: 1
; COMPUTE_PGM_RSRC2:TGID_Z_EN: 1
; COMPUTE_PGM_RSRC2:TIDIG_COMP_CNT: 1
	.section	.text._Z34scaled_masked_softmax_warp_forwardI6__halfS0_fLi9EEvPT0_PKT_PKhT1_iii,"axG",@progbits,_Z34scaled_masked_softmax_warp_forwardI6__halfS0_fLi9EEvPT0_PKT_PKhT1_iii,comdat
	.protected	_Z34scaled_masked_softmax_warp_forwardI6__halfS0_fLi9EEvPT0_PKT_PKhT1_iii ; -- Begin function _Z34scaled_masked_softmax_warp_forwardI6__halfS0_fLi9EEvPT0_PKT_PKhT1_iii
	.globl	_Z34scaled_masked_softmax_warp_forwardI6__halfS0_fLi9EEvPT0_PKT_PKhT1_iii
	.p2align	8
	.type	_Z34scaled_masked_softmax_warp_forwardI6__halfS0_fLi9EEvPT0_PKT_PKhT1_iii,@function
_Z34scaled_masked_softmax_warp_forwardI6__halfS0_fLi9EEvPT0_PKT_PKhT1_iii: ; @_Z34scaled_masked_softmax_warp_forwardI6__halfS0_fLi9EEvPT0_PKT_PKhT1_iii
; %bb.0:
	s_load_dword s2, s[4:5], 0x34
	s_load_dwordx4 s[56:59], s[4:5], 0x18
	s_load_dwordx2 s[0:1], s[4:5], 0x28
	s_mov_b32 s9, s6
	s_waitcnt lgkmcnt(0)
	s_lshr_b32 s2, s2, 16
	s_cmp_eq_u32 s59, 1
	s_cbranch_scc1 .LBB9_2
; %bb.1:
	s_mul_i32 s3, s0, s8
	s_add_i32 s9, s3, s6
.LBB9_2:
	s_mul_i32 s1, s1, s8
	s_add_i32 s1, s1, s7
	s_mul_i32 s0, s0, s1
	s_and_b32 s10, 0xffff, s2
	s_add_i32 s0, s0, s6
	s_mul_i32 s0, s0, s10
	v_add_u32_e32 v4, s0, v1
	v_lshlrev_b32_e32 v0, 2, v0
	v_mad_u64_u32 v[2:3], s[0:1], v4, s58, v[0:1]
	s_load_dwordx4 s[60:63], s[4:5], 0x0
	s_load_dwordx2 s[6:7], s[4:5], 0x10
	v_cmp_gt_i32_e32 vcc, s57, v4
	v_ashrrev_i32_e32 v3, 31, v2
	v_lshlrev_b64 v[2:3], 1, v[2:3]
                                        ; implicit-def: $vgpr10
                                        ; implicit-def: $vgpr14
                                        ; implicit-def: $vgpr13
                                        ; implicit-def: $vgpr12
                                        ; implicit-def: $vgpr15
                                        ; implicit-def: $vgpr18
                                        ; implicit-def: $vgpr17
                                        ; implicit-def: $vgpr16
                                        ; implicit-def: $vgpr19
                                        ; implicit-def: $vgpr22
                                        ; implicit-def: $vgpr21
                                        ; implicit-def: $vgpr20
                                        ; implicit-def: $vgpr23
                                        ; implicit-def: $vgpr25
                                        ; implicit-def: $vgpr24
                                        ; implicit-def: $vgpr9
	s_and_saveexec_b64 s[2:3], vcc
	s_cbranch_execz .LBB9_20
; %bb.3:
	s_mul_i32 s0, s9, s10
	v_add_u32_e32 v1, s0, v1
	v_mad_u64_u32 v[6:7], s[0:1], v1, s58, v[0:1]
	s_waitcnt lgkmcnt(0)
	v_mov_b32_e32 v5, s63
	v_add_co_u32_e64 v4, s[0:1], s62, v2
	v_addc_co_u32_e64 v5, s[0:1], v5, v3, s[0:1]
	v_ashrrev_i32_e32 v1, 31, v6
	v_mov_b32_e32 v7, s7
	v_add_co_u32_e64 v6, s[0:1], s6, v6
	v_addc_co_u32_e64 v7, s[0:1], v7, v1, s[0:1]
	v_cmp_gt_i32_e64 s[0:1], s58, v0
	v_mov_b32_e32 v10, 0xff800000
	v_mov_b32_e32 v14, 0xff800000
	;; [unrolled: 1-line block ×4, first 2 shown]
	s_and_saveexec_b64 s[4:5], s[0:1]
	s_cbranch_execz .LBB9_7
; %bb.4:
	global_load_dword v1, v[6:7], off
	global_load_dword v12, v[4:5], off offset:2
	global_load_ushort v11, v[4:5], off offset:6
	v_mov_b32_e32 v8, 1
	s_movk_i32 s6, 0xff
	v_mov_b32_e32 v9, 0xc61c4000
	v_mov_b32_e32 v10, 0xc61c4000
	s_waitcnt vmcnt(2)
	v_lshrrev_b32_e32 v13, 8, v1
	v_cmp_ne_u16_sdwa s[8:9], v1, v8 src0_sel:BYTE_0 src1_sel:DWORD
	s_and_saveexec_b64 s[0:1], s[8:9]
	s_cbranch_execz .LBB9_6
; %bb.5:
	global_load_ushort v10, v[4:5], off
	s_waitcnt vmcnt(0)
	v_cvt_f32_f16_e32 v10, v10
	v_mul_f32_e32 v10, s56, v10
.LBB9_6:
	s_or_b64 exec, exec, s[0:1]
	s_waitcnt vmcnt(1)
	v_cvt_f32_f16_e32 v14, v12
	v_cvt_f32_f16_sdwa v12, v12 dst_sel:DWORD dst_unused:UNUSED_PAD src0_sel:WORD_1
	s_waitcnt vmcnt(0)
	v_cvt_f32_f16_e32 v11, v11
	v_and_b32_sdwa v15, v1, s6 dst_sel:DWORD dst_unused:UNUSED_PAD src0_sel:WORD_1 src1_sel:DWORD
	v_mul_f32_e32 v14, s56, v14
	v_cmp_ne_u16_sdwa s[0:1], v13, v8 src0_sel:BYTE_0 src1_sel:DWORD
	v_cndmask_b32_e64 v14, v9, v14, s[0:1]
	v_mul_f32_e32 v12, s56, v12
	v_cmp_ne_u16_e64 s[0:1], 1, v15
	v_cndmask_b32_e64 v13, v9, v12, s[0:1]
	v_mul_f32_e32 v11, s56, v11
	v_cmp_ne_u16_sdwa s[0:1], v1, v8 src0_sel:BYTE_3 src1_sel:DWORD
	v_cndmask_b32_e64 v12, v9, v11, s[0:1]
.LBB9_7:
	s_or_b64 exec, exec, s[4:5]
	v_add_u32_e32 v1, 0x80, v0
	v_cmp_gt_i32_e64 s[0:1], s58, v1
	v_mov_b32_e32 v15, 0xff800000
	v_mov_b32_e32 v18, 0xff800000
	;; [unrolled: 1-line block ×4, first 2 shown]
	s_and_saveexec_b64 s[4:5], s[0:1]
	s_cbranch_execz .LBB9_11
; %bb.8:
	global_load_dword v1, v[6:7], off offset:128
	global_load_dword v16, v[4:5], off offset:258
	global_load_ushort v11, v[4:5], off offset:262
	v_mov_b32_e32 v8, 1
	s_movk_i32 s6, 0xff
	v_mov_b32_e32 v9, 0xc61c4000
	v_mov_b32_e32 v15, 0xc61c4000
	s_waitcnt vmcnt(2)
	v_lshrrev_b32_e32 v17, 8, v1
	v_cmp_ne_u16_sdwa s[8:9], v1, v8 src0_sel:BYTE_0 src1_sel:DWORD
	s_and_saveexec_b64 s[0:1], s[8:9]
	s_cbranch_execz .LBB9_10
; %bb.9:
	global_load_ushort v15, v[4:5], off offset:256
	s_waitcnt vmcnt(0)
	v_cvt_f32_f16_e32 v15, v15
	v_mul_f32_e32 v15, s56, v15
.LBB9_10:
	s_or_b64 exec, exec, s[0:1]
	s_waitcnt vmcnt(1)
	v_cvt_f32_f16_e32 v18, v16
	v_cvt_f32_f16_sdwa v16, v16 dst_sel:DWORD dst_unused:UNUSED_PAD src0_sel:WORD_1
	s_waitcnt vmcnt(0)
	v_cvt_f32_f16_e32 v11, v11
	v_and_b32_sdwa v19, v1, s6 dst_sel:DWORD dst_unused:UNUSED_PAD src0_sel:WORD_1 src1_sel:DWORD
	v_mul_f32_e32 v18, s56, v18
	v_cmp_ne_u16_sdwa s[0:1], v17, v8 src0_sel:BYTE_0 src1_sel:DWORD
	v_cndmask_b32_e64 v18, v9, v18, s[0:1]
	v_mul_f32_e32 v16, s56, v16
	v_cmp_ne_u16_e64 s[0:1], 1, v19
	v_cndmask_b32_e64 v17, v9, v16, s[0:1]
	v_mul_f32_e32 v11, s56, v11
	v_cmp_ne_u16_sdwa s[0:1], v1, v8 src0_sel:BYTE_3 src1_sel:DWORD
	v_cndmask_b32_e64 v16, v9, v11, s[0:1]
.LBB9_11:
	s_or_b64 exec, exec, s[4:5]
	v_add_u32_e32 v1, 0x100, v0
	v_cmp_gt_i32_e64 s[0:1], s58, v1
	v_mov_b32_e32 v19, 0xff800000
	v_mov_b32_e32 v22, 0xff800000
	;; [unrolled: 1-line block ×4, first 2 shown]
	s_and_saveexec_b64 s[4:5], s[0:1]
	s_cbranch_execz .LBB9_15
; %bb.12:
	global_load_dword v1, v[6:7], off offset:256
	global_load_dword v20, v[4:5], off offset:514
	global_load_ushort v11, v[4:5], off offset:518
	v_mov_b32_e32 v8, 1
	s_movk_i32 s6, 0xff
	v_mov_b32_e32 v9, 0xc61c4000
	v_mov_b32_e32 v19, 0xc61c4000
	s_waitcnt vmcnt(2)
	v_lshrrev_b32_e32 v21, 8, v1
	v_cmp_ne_u16_sdwa s[8:9], v1, v8 src0_sel:BYTE_0 src1_sel:DWORD
	s_and_saveexec_b64 s[0:1], s[8:9]
	s_cbranch_execz .LBB9_14
; %bb.13:
	global_load_ushort v19, v[4:5], off offset:512
	s_waitcnt vmcnt(0)
	v_cvt_f32_f16_e32 v19, v19
	v_mul_f32_e32 v19, s56, v19
.LBB9_14:
	s_or_b64 exec, exec, s[0:1]
	s_waitcnt vmcnt(1)
	v_cvt_f32_f16_e32 v22, v20
	v_cvt_f32_f16_sdwa v20, v20 dst_sel:DWORD dst_unused:UNUSED_PAD src0_sel:WORD_1
	s_waitcnt vmcnt(0)
	v_cvt_f32_f16_e32 v11, v11
	v_and_b32_sdwa v23, v1, s6 dst_sel:DWORD dst_unused:UNUSED_PAD src0_sel:WORD_1 src1_sel:DWORD
	v_mul_f32_e32 v22, s56, v22
	v_cmp_ne_u16_sdwa s[0:1], v21, v8 src0_sel:BYTE_0 src1_sel:DWORD
	v_cndmask_b32_e64 v22, v9, v22, s[0:1]
	v_mul_f32_e32 v20, s56, v20
	v_cmp_ne_u16_e64 s[0:1], 1, v23
	v_cndmask_b32_e64 v21, v9, v20, s[0:1]
	v_mul_f32_e32 v11, s56, v11
	v_cmp_ne_u16_sdwa s[0:1], v1, v8 src0_sel:BYTE_3 src1_sel:DWORD
	v_cndmask_b32_e64 v20, v9, v11, s[0:1]
.LBB9_15:
	s_or_b64 exec, exec, s[4:5]
	v_add_u32_e32 v1, 0x180, v0
	v_cmp_gt_i32_e64 s[0:1], s58, v1
	v_mov_b32_e32 v23, 0xff800000
	v_mov_b32_e32 v25, 0xff800000
	;; [unrolled: 1-line block ×4, first 2 shown]
	s_and_saveexec_b64 s[4:5], s[0:1]
	s_cbranch_execz .LBB9_19
; %bb.16:
	global_load_dword v1, v[6:7], off offset:384
	global_load_dword v9, v[4:5], off offset:770
	global_load_ushort v8, v[4:5], off offset:774
	v_mov_b32_e32 v6, 1
	s_movk_i32 s6, 0xff
	v_mov_b32_e32 v7, 0xc61c4000
	v_mov_b32_e32 v23, 0xc61c4000
	s_waitcnt vmcnt(2)
	v_lshrrev_b32_e32 v11, 8, v1
	v_cmp_ne_u16_sdwa s[8:9], v1, v6 src0_sel:BYTE_0 src1_sel:DWORD
	s_and_saveexec_b64 s[0:1], s[8:9]
	s_cbranch_execz .LBB9_18
; %bb.17:
	global_load_ushort v4, v[4:5], off offset:768
	s_waitcnt vmcnt(0)
	v_cvt_f32_f16_e32 v4, v4
	v_mul_f32_e32 v23, s56, v4
.LBB9_18:
	s_or_b64 exec, exec, s[0:1]
	s_waitcnt vmcnt(1)
	v_cvt_f32_f16_e32 v4, v9
	v_cvt_f32_f16_sdwa v9, v9 dst_sel:DWORD dst_unused:UNUSED_PAD src0_sel:WORD_1
	v_cmp_ne_u16_sdwa s[0:1], v11, v6 src0_sel:BYTE_0 src1_sel:DWORD
	v_and_b32_sdwa v5, v1, s6 dst_sel:DWORD dst_unused:UNUSED_PAD src0_sel:WORD_1 src1_sel:DWORD
	v_mul_f32_e32 v4, s56, v4
	v_cndmask_b32_e64 v25, v7, v4, s[0:1]
	s_waitcnt vmcnt(0)
	v_cvt_f32_f16_e32 v4, v8
	v_mul_f32_e32 v8, s56, v9
	v_cmp_ne_u16_e64 s[0:1], 1, v5
	v_cndmask_b32_e64 v24, v7, v8, s[0:1]
	v_mul_f32_e32 v4, s56, v4
	v_cmp_ne_u16_sdwa s[0:1], v1, v6 src0_sel:BYTE_3 src1_sel:DWORD
	v_cndmask_b32_e64 v9, v7, v4, s[0:1]
.LBB9_19:
	s_or_b64 exec, exec, s[4:5]
.LBB9_20:
	s_or_b64 exec, exec, s[2:3]
	v_cmp_gt_f32_e64 s[0:1], v10, v14
	v_cndmask_b32_e64 v1, v14, v10, s[0:1]
	v_cmp_gt_f32_e64 s[0:1], v1, v13
	v_cndmask_b32_e64 v1, v13, v1, s[0:1]
	;; [unrolled: 2-line block ×15, first 2 shown]
	v_mbcnt_lo_u32_b32 v1, -1, 0
	v_mbcnt_hi_u32_b32 v6, -1, v1
	v_and_b32_e32 v1, 0x60, v6
	v_add_u32_e32 v8, 32, v1
	v_xor_b32_e32 v1, 16, v6
	v_cmp_lt_i32_e64 s[0:1], v1, v8
	v_cndmask_b32_e64 v1, v6, v1, s[0:1]
	v_lshlrev_b32_e32 v1, 2, v1
	ds_bpermute_b32 v5, v1, v4
	s_mov_b32 s33, 0x3fb8aa3b
	s_mov_b32 s56, 0xc2ce8ed0
	;; [unrolled: 1-line block ×3, first 2 shown]
	s_waitcnt lgkmcnt(0)
	v_cmp_lt_f32_e64 s[0:1], v4, v5
	v_cndmask_b32_e64 v5, v4, v5, s[0:1]
	v_xor_b32_e32 v4, 8, v6
	v_cmp_lt_i32_e64 s[0:1], v4, v8
	v_cndmask_b32_e64 v4, v6, v4, s[0:1]
	v_lshlrev_b32_e32 v4, 2, v4
	ds_bpermute_b32 v7, v4, v5
	s_waitcnt lgkmcnt(0)
	v_cmp_lt_f32_e64 s[0:1], v5, v7
	v_cndmask_b32_e64 v7, v5, v7, s[0:1]
	v_xor_b32_e32 v5, 4, v6
	v_cmp_lt_i32_e64 s[0:1], v5, v8
	v_cndmask_b32_e64 v5, v6, v5, s[0:1]
	v_lshlrev_b32_e32 v5, 2, v5
	ds_bpermute_b32 v11, v5, v7
	;; [unrolled: 8-line block ×4, first 2 shown]
	s_waitcnt lgkmcnt(0)
	v_cmp_lt_f32_e64 s[0:1], v11, v6
	v_cndmask_b32_e64 v6, v11, v6, s[0:1]
	v_sub_f32_e32 v10, v10, v6
	v_mul_f32_e32 v11, 0x3fb8aa3b, v10
	v_fma_f32 v26, v10, s33, -v11
	v_rndne_f32_e32 v27, v11
	v_fmac_f32_e32 v26, 0x32a5705f, v10
	v_sub_f32_e32 v11, v11, v27
	v_add_f32_e32 v11, v11, v26
	v_exp_f32_e32 v11, v11
	v_cvt_i32_f32_e32 v26, v27
	v_sub_f32_e32 v24, v24, v6
	v_cmp_ngt_f32_e64 s[54:55], s56, v24
	v_ldexp_f32 v11, v11, v26
	v_sub_f32_e32 v26, v14, v6
	v_mul_f32_e32 v14, 0x3fb8aa3b, v26
	v_fma_f32 v27, v26, s33, -v14
	v_rndne_f32_e32 v28, v14
	v_fmac_f32_e32 v27, 0x32a5705f, v26
	v_sub_f32_e32 v14, v14, v28
	v_add_f32_e32 v14, v14, v27
	v_exp_f32_e32 v14, v14
	v_cvt_i32_f32_e32 v27, v28
	v_cmp_ngt_f32_e64 s[28:29], s56, v26
	v_cmp_nlt_f32_e64 s[0:1], s57, v26
	v_sub_f32_e32 v26, v13, v6
	v_mul_f32_e32 v13, 0x3fb8aa3b, v26
	v_ldexp_f32 v14, v14, v27
	v_fma_f32 v27, v26, s33, -v13
	v_rndne_f32_e32 v28, v13
	v_fmac_f32_e32 v27, 0x32a5705f, v26
	v_sub_f32_e32 v13, v13, v28
	v_add_f32_e32 v13, v13, v27
	v_exp_f32_e32 v13, v13
	v_cvt_i32_f32_e32 v27, v28
	v_cmp_ngt_f32_e64 s[26:27], s56, v26
	v_cmp_nlt_f32_e64 s[2:3], s57, v26
	v_sub_f32_e32 v26, v12, v6
	v_mul_f32_e32 v12, 0x3fb8aa3b, v26
	v_ldexp_f32 v13, v13, v27
	;; [unrolled: 12-line block ×12, first 2 shown]
	v_fma_f32 v27, v26, s33, -v25
	v_rndne_f32_e32 v28, v25
	v_fmac_f32_e32 v27, 0x32a5705f, v26
	v_sub_f32_e32 v25, v25, v28
	v_add_f32_e32 v25, v25, v27
	v_exp_f32_e32 v25, v25
	v_cvt_i32_f32_e32 v27, v28
	v_cmp_ngt_f32_e64 s[52:53], s56, v26
	v_cmp_nlt_f32_e64 s[24:25], s57, v26
	v_mul_f32_e32 v26, 0x3fb8aa3b, v24
	v_ldexp_f32 v25, v25, v27
	v_fma_f32 v27, v24, s33, -v26
	v_rndne_f32_e32 v28, v26
	v_fmac_f32_e32 v27, 0x32a5705f, v24
	v_sub_f32_e32 v26, v26, v28
	v_add_f32_e32 v26, v26, v27
	v_exp_f32_e32 v26, v26
	v_cvt_i32_f32_e32 v27, v28
	v_cndmask_b32_e64 v14, 0, v14, s[28:29]
	v_cmp_nlt_f32_e64 s[28:29], s57, v24
	v_cndmask_b32_e64 v12, 0, v12, s[30:31]
	v_ldexp_f32 v28, v26, v27
	v_sub_f32_e32 v26, v9, v6
	v_mul_f32_e32 v9, 0x3fb8aa3b, v26
	v_fma_f32 v27, v26, s33, -v9
	v_rndne_f32_e32 v24, v9
	v_fmac_f32_e32 v27, 0x32a5705f, v26
	v_sub_f32_e32 v9, v9, v24
	v_add_f32_e32 v9, v9, v27
	v_exp_f32_e32 v9, v9
	v_cvt_i32_f32_e32 v24, v24
	v_cmp_nlt_f32_e64 s[30:31], s57, v10
	v_cndmask_b32_e64 v27, 0, v20, s[48:49]
	v_cndmask_b32_e64 v17, 0, v17, s[38:39]
	v_ldexp_f32 v29, v9, v24
	v_cndmask_b32_e64 v9, 0, v13, s[26:27]
	v_cndmask_b32_e64 v13, 0, v15, s[34:35]
	;; [unrolled: 1-line block ×3, first 2 shown]
	v_cmp_ngt_f32_e64 s[36:37], s56, v10
	v_cmp_ngt_f32_e64 s[34:35], s56, v26
	v_cndmask_b32_e64 v10, 0, v28, s[54:55]
	v_cndmask_b32_e64 v11, 0, v11, s[36:37]
	v_mov_b32_e32 v28, 0x7f800000
	v_cmp_nlt_f32_e64 s[26:27], s57, v26
	v_cndmask_b32_e64 v20, 0, v29, s[34:35]
	v_cndmask_b32_e64 v32, v28, v11, s[30:31]
	;; [unrolled: 1-line block ×5, first 2 shown]
	v_add_f32_e32 v20, v32, v31
	v_cndmask_b32_e64 v29, v28, v12, s[4:5]
	v_add_f32_e32 v20, v20, v30
	v_cndmask_b32_e64 v26, 0, v21, s[46:47]
	v_cndmask_b32_e64 v21, 0, v25, s[52:53]
	;; [unrolled: 1-line block ×3, first 2 shown]
	v_add_f32_e32 v20, v20, v29
	v_cndmask_b32_e64 v24, 0, v19, s[42:43]
	v_cndmask_b32_e64 v19, v28, v15, s[8:9]
	v_add_f32_e32 v20, v20, v25
	v_cndmask_b32_e64 v16, 0, v16, s[40:41]
	v_cndmask_b32_e64 v18, v28, v17, s[10:11]
	v_add_f32_e32 v20, v20, v19
	v_cndmask_b32_e64 v17, v28, v16, s[12:13]
	v_add_f32_e32 v20, v20, v18
	v_cndmask_b32_e64 v22, 0, v22, s[44:45]
	v_cndmask_b32_e64 v16, v28, v24, s[14:15]
	v_add_f32_e32 v20, v20, v17
	v_cndmask_b32_e64 v15, v28, v22, s[16:17]
	v_add_f32_e32 v20, v20, v16
	;; [unrolled: 2-line block ×3, first 2 shown]
	v_cndmask_b32_e64 v23, 0, v23, s[50:51]
	v_cndmask_b32_e64 v13, v28, v27, s[20:21]
	v_add_f32_e32 v20, v20, v14
	v_cndmask_b32_e64 v12, v28, v23, s[22:23]
	v_add_f32_e32 v20, v20, v13
	;; [unrolled: 2-line block ×4, first 2 shown]
	v_add_f32_e32 v20, v20, v10
	v_add_f32_e32 v20, v20, v9
	ds_bpermute_b32 v1, v1, v20
	v_cmp_gt_i32_e64 s[0:1], s58, v0
	s_and_b64 s[0:1], vcc, s[0:1]
	s_waitcnt lgkmcnt(0)
	v_add_f32_e32 v1, v20, v1
	ds_bpermute_b32 v4, v4, v1
	s_waitcnt lgkmcnt(0)
	v_add_f32_e32 v1, v1, v4
	ds_bpermute_b32 v4, v5, v1
	;; [unrolled: 3-line block ×4, first 2 shown]
	s_and_saveexec_b64 s[2:3], s[0:1]
	s_cbranch_execz .LBB9_57
; %bb.21:
	s_mov_b32 s0, 0xc61c4000
	v_cmp_neq_f32_e64 s[0:1], s0, v6
	s_waitcnt lgkmcnt(0)
	v_add_f32_e32 v4, v1, v4
	v_mov_b32_e32 v5, 0
	v_mov_b32_e32 v6, 0
	s_and_saveexec_b64 s[2:3], s[0:1]
	s_cbranch_execz .LBB9_23
; %bb.22:
	v_div_scale_f32 v1, s[4:5], v4, v4, v32
	v_div_scale_f32 v6, vcc, v32, v4, v32
	v_rcp_f32_e32 v7, v1
	v_fma_f32 v8, -v1, v7, 1.0
	v_fmac_f32_e32 v7, v8, v7
	v_mul_f32_e32 v8, v6, v7
	v_fma_f32 v20, -v1, v8, v6
	v_fmac_f32_e32 v8, v20, v7
	v_fma_f32 v1, -v1, v8, v6
	v_div_fmas_f32 v1, v1, v7, v8
	v_div_fixup_f32 v1, v1, v4, v32
	v_cvt_f16_f32_e32 v6, v1
.LBB9_23:
	s_or_b64 exec, exec, s[2:3]
	s_and_saveexec_b64 s[2:3], s[0:1]
	s_cbranch_execz .LBB9_25
; %bb.24:
	v_div_scale_f32 v1, s[4:5], v4, v4, v31
	v_div_scale_f32 v5, vcc, v31, v4, v31
	v_rcp_f32_e32 v7, v1
	v_fma_f32 v8, -v1, v7, 1.0
	v_fmac_f32_e32 v7, v8, v7
	v_mul_f32_e32 v8, v5, v7
	v_fma_f32 v20, -v1, v8, v5
	v_fmac_f32_e32 v8, v20, v7
	v_fma_f32 v1, -v1, v8, v5
	v_div_fmas_f32 v1, v1, v7, v8
	v_div_fixup_f32 v1, v1, v4, v31
	v_cvt_f16_f32_e32 v5, v1
.LBB9_25:
	s_or_b64 exec, exec, s[2:3]
	v_mov_b32_e32 v7, 0
	v_mov_b32_e32 v8, 0
	s_and_saveexec_b64 s[2:3], s[0:1]
	s_cbranch_execz .LBB9_27
; %bb.26:
	v_div_scale_f32 v1, s[4:5], v4, v4, v30
	v_div_scale_f32 v8, vcc, v30, v4, v30
	v_rcp_f32_e32 v20, v1
	v_fma_f32 v21, -v1, v20, 1.0
	v_fmac_f32_e32 v20, v21, v20
	v_mul_f32_e32 v21, v8, v20
	v_fma_f32 v22, -v1, v21, v8
	v_fmac_f32_e32 v21, v22, v20
	v_fma_f32 v1, -v1, v21, v8
	v_div_fmas_f32 v1, v1, v20, v21
	v_div_fixup_f32 v1, v1, v4, v30
	v_cvt_f16_f32_e32 v8, v1
.LBB9_27:
	s_or_b64 exec, exec, s[2:3]
	s_and_saveexec_b64 s[2:3], s[0:1]
	s_cbranch_execz .LBB9_29
; %bb.28:
	v_div_scale_f32 v1, s[4:5], v4, v4, v29
	v_div_scale_f32 v7, vcc, v29, v4, v29
	v_rcp_f32_e32 v20, v1
	v_fma_f32 v21, -v1, v20, 1.0
	v_fmac_f32_e32 v20, v21, v20
	v_mul_f32_e32 v21, v7, v20
	v_fma_f32 v22, -v1, v21, v7
	v_fmac_f32_e32 v21, v22, v20
	v_fma_f32 v1, -v1, v21, v7
	v_div_fmas_f32 v1, v1, v20, v21
	v_div_fixup_f32 v1, v1, v4, v29
	v_cvt_f16_f32_e32 v7, v1
.LBB9_29:
	s_or_b64 exec, exec, s[2:3]
	v_mov_b32_e32 v20, s61
	v_add_co_u32_e32 v1, vcc, s60, v2
	v_addc_co_u32_e32 v2, vcc, v20, v3, vcc
	s_mov_b32 s2, 0x5040100
	v_add_u32_e32 v3, 0x80, v0
	v_perm_b32 v7, v7, v8, s2
	v_perm_b32 v6, v5, v6, s2
	v_cmp_gt_u32_e32 vcc, s58, v3
	global_store_dwordx2 v[1:2], v[6:7], off
	s_and_b64 exec, exec, vcc
	s_cbranch_execz .LBB9_57
; %bb.30:
	v_mov_b32_e32 v3, 0
	v_mov_b32_e32 v5, 0
	s_and_saveexec_b64 s[2:3], s[0:1]
	s_cbranch_execz .LBB9_32
; %bb.31:
	v_div_scale_f32 v5, s[4:5], v4, v4, v25
	v_div_scale_f32 v6, vcc, v25, v4, v25
	v_rcp_f32_e32 v7, v5
	v_fma_f32 v8, -v5, v7, 1.0
	v_fmac_f32_e32 v7, v8, v7
	v_mul_f32_e32 v8, v6, v7
	v_fma_f32 v20, -v5, v8, v6
	v_fmac_f32_e32 v8, v20, v7
	v_fma_f32 v5, -v5, v8, v6
	v_div_fmas_f32 v5, v5, v7, v8
	v_div_fixup_f32 v5, v5, v4, v25
	v_cvt_f16_f32_e32 v5, v5
.LBB9_32:
	s_or_b64 exec, exec, s[2:3]
	s_and_saveexec_b64 s[2:3], s[0:1]
	s_cbranch_execz .LBB9_34
; %bb.33:
	v_div_scale_f32 v3, s[4:5], v4, v4, v19
	v_div_scale_f32 v6, vcc, v19, v4, v19
	v_rcp_f32_e32 v7, v3
	v_fma_f32 v8, -v3, v7, 1.0
	v_fmac_f32_e32 v7, v8, v7
	v_mul_f32_e32 v8, v6, v7
	v_fma_f32 v20, -v3, v8, v6
	v_fmac_f32_e32 v8, v20, v7
	v_fma_f32 v3, -v3, v8, v6
	v_div_fmas_f32 v3, v3, v7, v8
	v_div_fixup_f32 v3, v3, v4, v19
	v_cvt_f16_f32_e32 v3, v3
.LBB9_34:
	s_or_b64 exec, exec, s[2:3]
	v_mov_b32_e32 v6, 0
	v_mov_b32_e32 v7, 0
	s_and_saveexec_b64 s[2:3], s[0:1]
	s_cbranch_execz .LBB9_36
; %bb.35:
	v_div_scale_f32 v7, s[4:5], v4, v4, v18
	v_div_scale_f32 v8, vcc, v18, v4, v18
	v_rcp_f32_e32 v19, v7
	v_fma_f32 v20, -v7, v19, 1.0
	v_fmac_f32_e32 v19, v20, v19
	v_mul_f32_e32 v20, v8, v19
	v_fma_f32 v21, -v7, v20, v8
	v_fmac_f32_e32 v20, v21, v19
	v_fma_f32 v7, -v7, v20, v8
	v_div_fmas_f32 v7, v7, v19, v20
	v_div_fixup_f32 v7, v7, v4, v18
	v_cvt_f16_f32_e32 v7, v7
.LBB9_36:
	s_or_b64 exec, exec, s[2:3]
	s_and_saveexec_b64 s[2:3], s[0:1]
	s_cbranch_execz .LBB9_38
; %bb.37:
	v_div_scale_f32 v6, s[4:5], v4, v4, v17
	v_div_scale_f32 v8, vcc, v17, v4, v17
	v_rcp_f32_e32 v18, v6
	v_fma_f32 v19, -v6, v18, 1.0
	v_fmac_f32_e32 v18, v19, v18
	v_mul_f32_e32 v19, v8, v18
	v_fma_f32 v20, -v6, v19, v8
	v_fmac_f32_e32 v19, v20, v18
	v_fma_f32 v6, -v6, v19, v8
	v_div_fmas_f32 v6, v6, v18, v19
	v_div_fixup_f32 v6, v6, v4, v17
	v_cvt_f16_f32_e32 v6, v6
.LBB9_38:
	s_or_b64 exec, exec, s[2:3]
	s_mov_b32 s2, 0x5040100
	v_perm_b32 v5, v3, v5, s2
	v_add_u32_e32 v3, 0x100, v0
	v_perm_b32 v6, v6, v7, s2
	v_cmp_gt_u32_e32 vcc, s58, v3
	global_store_dwordx2 v[1:2], v[5:6], off offset:256
	s_and_b64 exec, exec, vcc
	s_cbranch_execz .LBB9_57
; %bb.39:
	v_mov_b32_e32 v3, 0
	v_mov_b32_e32 v5, 0
	s_and_saveexec_b64 s[2:3], s[0:1]
	s_cbranch_execz .LBB9_41
; %bb.40:
	v_div_scale_f32 v5, s[4:5], v4, v4, v16
	v_div_scale_f32 v6, vcc, v16, v4, v16
	v_rcp_f32_e32 v7, v5
	v_fma_f32 v8, -v5, v7, 1.0
	v_fmac_f32_e32 v7, v8, v7
	v_mul_f32_e32 v8, v6, v7
	v_fma_f32 v17, -v5, v8, v6
	v_fmac_f32_e32 v8, v17, v7
	v_fma_f32 v5, -v5, v8, v6
	v_div_fmas_f32 v5, v5, v7, v8
	v_div_fixup_f32 v5, v5, v4, v16
	v_cvt_f16_f32_e32 v5, v5
.LBB9_41:
	s_or_b64 exec, exec, s[2:3]
	s_and_saveexec_b64 s[2:3], s[0:1]
	s_cbranch_execz .LBB9_43
; %bb.42:
	v_div_scale_f32 v3, s[4:5], v4, v4, v15
	v_div_scale_f32 v6, vcc, v15, v4, v15
	v_rcp_f32_e32 v7, v3
	v_fma_f32 v8, -v3, v7, 1.0
	v_fmac_f32_e32 v7, v8, v7
	v_mul_f32_e32 v8, v6, v7
	v_fma_f32 v16, -v3, v8, v6
	v_fmac_f32_e32 v8, v16, v7
	v_fma_f32 v3, -v3, v8, v6
	v_div_fmas_f32 v3, v3, v7, v8
	v_div_fixup_f32 v3, v3, v4, v15
	v_cvt_f16_f32_e32 v3, v3
.LBB9_43:
	s_or_b64 exec, exec, s[2:3]
	v_mov_b32_e32 v6, 0
	v_mov_b32_e32 v7, 0
	s_and_saveexec_b64 s[2:3], s[0:1]
	s_cbranch_execz .LBB9_45
; %bb.44:
	v_div_scale_f32 v7, s[4:5], v4, v4, v14
	v_div_scale_f32 v8, vcc, v14, v4, v14
	v_rcp_f32_e32 v15, v7
	v_fma_f32 v16, -v7, v15, 1.0
	v_fmac_f32_e32 v15, v16, v15
	v_mul_f32_e32 v16, v8, v15
	v_fma_f32 v17, -v7, v16, v8
	v_fmac_f32_e32 v16, v17, v15
	v_fma_f32 v7, -v7, v16, v8
	v_div_fmas_f32 v7, v7, v15, v16
	v_div_fixup_f32 v7, v7, v4, v14
	v_cvt_f16_f32_e32 v7, v7
.LBB9_45:
	s_or_b64 exec, exec, s[2:3]
	s_and_saveexec_b64 s[2:3], s[0:1]
	s_cbranch_execz .LBB9_47
; %bb.46:
	v_div_scale_f32 v6, s[4:5], v4, v4, v13
	v_div_scale_f32 v8, vcc, v13, v4, v13
	v_rcp_f32_e32 v14, v6
	v_fma_f32 v15, -v6, v14, 1.0
	v_fmac_f32_e32 v14, v15, v14
	v_mul_f32_e32 v15, v8, v14
	v_fma_f32 v16, -v6, v15, v8
	v_fmac_f32_e32 v15, v16, v14
	v_fma_f32 v6, -v6, v15, v8
	v_div_fmas_f32 v6, v6, v14, v15
	v_div_fixup_f32 v6, v6, v4, v13
	v_cvt_f16_f32_e32 v6, v6
.LBB9_47:
	s_or_b64 exec, exec, s[2:3]
	s_mov_b32 s2, 0x5040100
	v_add_u32_e32 v0, 0x180, v0
	v_perm_b32 v6, v6, v7, s2
	v_perm_b32 v5, v3, v5, s2
	v_cmp_gt_u32_e32 vcc, s58, v0
	global_store_dwordx2 v[1:2], v[5:6], off offset:512
	s_and_b64 exec, exec, vcc
	s_cbranch_execz .LBB9_57
; %bb.48:
	v_mov_b32_e32 v0, 0
	v_mov_b32_e32 v3, 0
	s_and_saveexec_b64 s[2:3], s[0:1]
	s_cbranch_execz .LBB9_50
; %bb.49:
	v_div_scale_f32 v3, s[4:5], v4, v4, v12
	v_div_scale_f32 v5, vcc, v12, v4, v12
	v_rcp_f32_e32 v6, v3
	v_fma_f32 v7, -v3, v6, 1.0
	v_fmac_f32_e32 v6, v7, v6
	v_mul_f32_e32 v7, v5, v6
	v_fma_f32 v8, -v3, v7, v5
	v_fmac_f32_e32 v7, v8, v6
	v_fma_f32 v3, -v3, v7, v5
	v_div_fmas_f32 v3, v3, v6, v7
	v_div_fixup_f32 v3, v3, v4, v12
	v_cvt_f16_f32_e32 v3, v3
.LBB9_50:
	s_or_b64 exec, exec, s[2:3]
	s_and_saveexec_b64 s[2:3], s[0:1]
	s_cbranch_execz .LBB9_52
; %bb.51:
	v_div_scale_f32 v0, s[4:5], v4, v4, v11
	v_div_scale_f32 v5, vcc, v11, v4, v11
	v_rcp_f32_e32 v6, v0
	v_fma_f32 v7, -v0, v6, 1.0
	v_fmac_f32_e32 v6, v7, v6
	v_mul_f32_e32 v7, v5, v6
	v_fma_f32 v8, -v0, v7, v5
	v_fmac_f32_e32 v7, v8, v6
	v_fma_f32 v0, -v0, v7, v5
	v_div_fmas_f32 v0, v0, v6, v7
	v_div_fixup_f32 v0, v0, v4, v11
	v_cvt_f16_f32_e32 v0, v0
.LBB9_52:
	s_or_b64 exec, exec, s[2:3]
	v_mov_b32_e32 v5, 0
	v_mov_b32_e32 v6, 0
	s_and_saveexec_b64 s[2:3], s[0:1]
	s_cbranch_execz .LBB9_54
; %bb.53:
	v_div_scale_f32 v6, s[4:5], v4, v4, v10
	v_div_scale_f32 v7, vcc, v10, v4, v10
	v_rcp_f32_e32 v8, v6
	v_fma_f32 v11, -v6, v8, 1.0
	v_fmac_f32_e32 v8, v11, v8
	v_mul_f32_e32 v11, v7, v8
	v_fma_f32 v12, -v6, v11, v7
	v_fmac_f32_e32 v11, v12, v8
	v_fma_f32 v6, -v6, v11, v7
	v_div_fmas_f32 v6, v6, v8, v11
	v_div_fixup_f32 v6, v6, v4, v10
	v_cvt_f16_f32_e32 v6, v6
.LBB9_54:
	s_or_b64 exec, exec, s[2:3]
	s_and_saveexec_b64 s[2:3], s[0:1]
	s_cbranch_execz .LBB9_56
; %bb.55:
	v_div_scale_f32 v5, s[0:1], v4, v4, v9
	v_div_scale_f32 v7, vcc, v9, v4, v9
	v_rcp_f32_e32 v8, v5
	v_fma_f32 v10, -v5, v8, 1.0
	v_fmac_f32_e32 v8, v10, v8
	v_mul_f32_e32 v10, v7, v8
	v_fma_f32 v11, -v5, v10, v7
	v_fmac_f32_e32 v10, v11, v8
	v_fma_f32 v5, -v5, v10, v7
	v_div_fmas_f32 v5, v5, v8, v10
	v_div_fixup_f32 v4, v5, v4, v9
	v_cvt_f16_f32_e32 v5, v4
.LBB9_56:
	s_or_b64 exec, exec, s[2:3]
	s_mov_b32 s0, 0x5040100
	v_perm_b32 v4, v5, v6, s0
	v_perm_b32 v3, v0, v3, s0
	global_store_dwordx2 v[1:2], v[3:4], off offset:768
.LBB9_57:
	s_endpgm
	.section	.rodata,"a",@progbits
	.p2align	6, 0x0
	.amdhsa_kernel _Z34scaled_masked_softmax_warp_forwardI6__halfS0_fLi9EEvPT0_PKT_PKhT1_iii
		.amdhsa_group_segment_fixed_size 0
		.amdhsa_private_segment_fixed_size 0
		.amdhsa_kernarg_size 296
		.amdhsa_user_sgpr_count 6
		.amdhsa_user_sgpr_private_segment_buffer 1
		.amdhsa_user_sgpr_dispatch_ptr 0
		.amdhsa_user_sgpr_queue_ptr 0
		.amdhsa_user_sgpr_kernarg_segment_ptr 1
		.amdhsa_user_sgpr_dispatch_id 0
		.amdhsa_user_sgpr_flat_scratch_init 0
		.amdhsa_user_sgpr_private_segment_size 0
		.amdhsa_uses_dynamic_stack 0
		.amdhsa_system_sgpr_private_segment_wavefront_offset 0
		.amdhsa_system_sgpr_workgroup_id_x 1
		.amdhsa_system_sgpr_workgroup_id_y 1
		.amdhsa_system_sgpr_workgroup_id_z 1
		.amdhsa_system_sgpr_workgroup_info 0
		.amdhsa_system_vgpr_workitem_id 1
		.amdhsa_next_free_vgpr 33
		.amdhsa_next_free_sgpr 64
		.amdhsa_reserve_vcc 1
		.amdhsa_reserve_flat_scratch 0
		.amdhsa_float_round_mode_32 0
		.amdhsa_float_round_mode_16_64 0
		.amdhsa_float_denorm_mode_32 3
		.amdhsa_float_denorm_mode_16_64 3
		.amdhsa_dx10_clamp 1
		.amdhsa_ieee_mode 1
		.amdhsa_fp16_overflow 0
		.amdhsa_exception_fp_ieee_invalid_op 0
		.amdhsa_exception_fp_denorm_src 0
		.amdhsa_exception_fp_ieee_div_zero 0
		.amdhsa_exception_fp_ieee_overflow 0
		.amdhsa_exception_fp_ieee_underflow 0
		.amdhsa_exception_fp_ieee_inexact 0
		.amdhsa_exception_int_div_zero 0
	.end_amdhsa_kernel
	.section	.text._Z34scaled_masked_softmax_warp_forwardI6__halfS0_fLi9EEvPT0_PKT_PKhT1_iii,"axG",@progbits,_Z34scaled_masked_softmax_warp_forwardI6__halfS0_fLi9EEvPT0_PKT_PKhT1_iii,comdat
.Lfunc_end9:
	.size	_Z34scaled_masked_softmax_warp_forwardI6__halfS0_fLi9EEvPT0_PKT_PKhT1_iii, .Lfunc_end9-_Z34scaled_masked_softmax_warp_forwardI6__halfS0_fLi9EEvPT0_PKT_PKhT1_iii
                                        ; -- End function
	.set _Z34scaled_masked_softmax_warp_forwardI6__halfS0_fLi9EEvPT0_PKT_PKhT1_iii.num_vgpr, 33
	.set _Z34scaled_masked_softmax_warp_forwardI6__halfS0_fLi9EEvPT0_PKT_PKhT1_iii.num_agpr, 0
	.set _Z34scaled_masked_softmax_warp_forwardI6__halfS0_fLi9EEvPT0_PKT_PKhT1_iii.numbered_sgpr, 64
	.set _Z34scaled_masked_softmax_warp_forwardI6__halfS0_fLi9EEvPT0_PKT_PKhT1_iii.num_named_barrier, 0
	.set _Z34scaled_masked_softmax_warp_forwardI6__halfS0_fLi9EEvPT0_PKT_PKhT1_iii.private_seg_size, 0
	.set _Z34scaled_masked_softmax_warp_forwardI6__halfS0_fLi9EEvPT0_PKT_PKhT1_iii.uses_vcc, 1
	.set _Z34scaled_masked_softmax_warp_forwardI6__halfS0_fLi9EEvPT0_PKT_PKhT1_iii.uses_flat_scratch, 0
	.set _Z34scaled_masked_softmax_warp_forwardI6__halfS0_fLi9EEvPT0_PKT_PKhT1_iii.has_dyn_sized_stack, 0
	.set _Z34scaled_masked_softmax_warp_forwardI6__halfS0_fLi9EEvPT0_PKT_PKhT1_iii.has_recursion, 0
	.set _Z34scaled_masked_softmax_warp_forwardI6__halfS0_fLi9EEvPT0_PKT_PKhT1_iii.has_indirect_call, 0
	.section	.AMDGPU.csdata,"",@progbits
; Kernel info:
; codeLenInByte = 5008
; TotalNumSgprs: 68
; NumVgprs: 33
; ScratchSize: 0
; MemoryBound: 0
; FloatMode: 240
; IeeeMode: 1
; LDSByteSize: 0 bytes/workgroup (compile time only)
; SGPRBlocks: 8
; VGPRBlocks: 8
; NumSGPRsForWavesPerEU: 68
; NumVGPRsForWavesPerEU: 33
; Occupancy: 7
; WaveLimiterHint : 0
; COMPUTE_PGM_RSRC2:SCRATCH_EN: 0
; COMPUTE_PGM_RSRC2:USER_SGPR: 6
; COMPUTE_PGM_RSRC2:TRAP_HANDLER: 0
; COMPUTE_PGM_RSRC2:TGID_X_EN: 1
; COMPUTE_PGM_RSRC2:TGID_Y_EN: 1
; COMPUTE_PGM_RSRC2:TGID_Z_EN: 1
; COMPUTE_PGM_RSRC2:TIDIG_COMP_CNT: 1
	.section	.text._Z34scaled_masked_softmax_warp_forwardI6__halfS0_fLi10EEvPT0_PKT_PKhT1_iii,"axG",@progbits,_Z34scaled_masked_softmax_warp_forwardI6__halfS0_fLi10EEvPT0_PKT_PKhT1_iii,comdat
	.protected	_Z34scaled_masked_softmax_warp_forwardI6__halfS0_fLi10EEvPT0_PKT_PKhT1_iii ; -- Begin function _Z34scaled_masked_softmax_warp_forwardI6__halfS0_fLi10EEvPT0_PKT_PKhT1_iii
	.globl	_Z34scaled_masked_softmax_warp_forwardI6__halfS0_fLi10EEvPT0_PKT_PKhT1_iii
	.p2align	8
	.type	_Z34scaled_masked_softmax_warp_forwardI6__halfS0_fLi10EEvPT0_PKT_PKhT1_iii,@function
_Z34scaled_masked_softmax_warp_forwardI6__halfS0_fLi10EEvPT0_PKT_PKhT1_iii: ; @_Z34scaled_masked_softmax_warp_forwardI6__halfS0_fLi10EEvPT0_PKT_PKhT1_iii
; %bb.0:
	s_load_dword s2, s[4:5], 0x34
	s_load_dwordx4 s[12:15], s[4:5], 0x18
	s_load_dwordx2 s[0:1], s[4:5], 0x28
	s_mov_b32 s9, s6
	s_waitcnt lgkmcnt(0)
	s_lshr_b32 s2, s2, 16
	s_cmp_eq_u32 s15, 1
	s_cbranch_scc1 .LBB10_2
; %bb.1:
	s_mul_i32 s3, s0, s8
	s_add_i32 s9, s3, s6
.LBB10_2:
	s_mul_i32 s1, s1, s8
	s_add_i32 s1, s1, s7
	s_mul_i32 s0, s0, s1
	s_and_b32 s10, 0xffff, s2
	s_add_i32 s0, s0, s6
	s_mul_i32 s0, s0, s10
	v_add_u32_e32 v4, s0, v1
	v_lshlrev_b32_e32 v0, 2, v0
	v_mad_u64_u32 v[2:3], s[0:1], v4, s14, v[0:1]
	s_load_dwordx4 s[16:19], s[4:5], 0x0
	s_load_dwordx2 s[6:7], s[4:5], 0x10
	v_cmp_gt_i32_e64 s[0:1], s13, v4
	v_ashrrev_i32_e32 v3, 31, v2
	v_lshlrev_b64 v[2:3], 1, v[2:3]
                                        ; implicit-def: $vgpr19
                                        ; implicit-def: $vgpr20
                                        ; implicit-def: $vgpr18
                                        ; implicit-def: $vgpr17
                                        ; implicit-def: $vgpr21
                                        ; implicit-def: $vgpr24
                                        ; implicit-def: $vgpr23
                                        ; implicit-def: $vgpr22
                                        ; implicit-def: $vgpr26
                                        ; implicit-def: $vgpr29
                                        ; implicit-def: $vgpr28
                                        ; implicit-def: $vgpr27
                                        ; implicit-def: $vgpr30
                                        ; implicit-def: $vgpr33
                                        ; implicit-def: $vgpr32
                                        ; implicit-def: $vgpr31
                                        ; implicit-def: $vgpr34
                                        ; implicit-def: $vgpr37
                                        ; implicit-def: $vgpr36
                                        ; implicit-def: $vgpr35
                                        ; implicit-def: $vgpr38
                                        ; implicit-def: $vgpr41
                                        ; implicit-def: $vgpr40
                                        ; implicit-def: $vgpr39
                                        ; implicit-def: $vgpr9
                                        ; implicit-def: $vgpr12
                                        ; implicit-def: $vgpr11
                                        ; implicit-def: $vgpr10
                                        ; implicit-def: $vgpr13
                                        ; implicit-def: $vgpr16
                                        ; implicit-def: $vgpr15
                                        ; implicit-def: $vgpr14
	s_mov_b64 s[2:3], exec
                                        ; implicit-def: $vgpr57 : SGPR spill to VGPR lane
	v_writelane_b32 v57, s0, 0
	v_writelane_b32 v57, s1, 1
	s_and_b64 s[0:1], s[2:3], s[0:1]
	s_mov_b64 exec, s[0:1]
	s_cbranch_execz .LBB10_36
; %bb.3:
	s_mul_i32 s0, s9, s10
	v_add_u32_e32 v1, s0, v1
	v_mad_u64_u32 v[6:7], s[0:1], v1, s14, v[0:1]
	s_waitcnt lgkmcnt(0)
	v_mov_b32_e32 v5, s19
	v_add_co_u32_e64 v4, s[0:1], s18, v2
	v_addc_co_u32_e64 v5, s[0:1], v5, v3, s[0:1]
	v_ashrrev_i32_e32 v1, 31, v6
	v_mov_b32_e32 v7, s7
	v_add_co_u32_e64 v6, s[0:1], s6, v6
	v_addc_co_u32_e64 v7, s[0:1], v7, v1, s[0:1]
	v_cmp_gt_i32_e64 s[0:1], s14, v0
	v_mov_b32_e32 v19, 0xff800000
	v_mov_b32_e32 v20, 0xff800000
	;; [unrolled: 1-line block ×4, first 2 shown]
	s_and_saveexec_b64 s[4:5], s[0:1]
	s_cbranch_execz .LBB10_7
; %bb.4:
	global_load_dword v1, v[6:7], off
	global_load_dword v10, v[4:5], off offset:2
	global_load_ushort v9, v[4:5], off offset:6
	v_mov_b32_e32 v11, 1
	v_mov_b32_e32 v8, 0xc61c4000
	;; [unrolled: 1-line block ×3, first 2 shown]
	s_waitcnt vmcnt(2)
	v_cmp_ne_u32_sdwa s[6:7], v1, v11 src0_sel:BYTE_0 src1_sel:DWORD
	s_and_saveexec_b64 s[0:1], s[6:7]
	s_cbranch_execz .LBB10_6
; %bb.5:
	global_load_ushort v11, v[4:5], off
	s_waitcnt vmcnt(0)
	v_cvt_f32_f16_e32 v11, v11
	v_mul_f32_e32 v19, s12, v11
.LBB10_6:
	s_or_b64 exec, exec, s[0:1]
	s_waitcnt vmcnt(1)
	v_cvt_f32_f16_e32 v11, v10
	v_cvt_f32_f16_sdwa v10, v10 dst_sel:DWORD dst_unused:UNUSED_PAD src0_sel:WORD_1
	v_and_b32_e32 v12, 0xff00, v1
	s_movk_i32 s0, 0x100
	s_waitcnt vmcnt(0)
	v_cvt_f32_f16_e32 v9, v9
	v_mul_f32_e32 v11, s12, v11
	v_cmp_ne_u32_e32 vcc, s0, v12
	v_cndmask_b32_e32 v20, v8, v11, vcc
	v_and_b32_e32 v11, 0xff0000, v1
	s_mov_b32 s0, 0x10000
	v_mul_f32_e32 v10, s12, v10
	v_cmp_ne_u32_e32 vcc, s0, v11
	v_and_b32_e32 v1, 0xff000000, v1
	s_mov_b32 s0, 0x1000000
	v_cndmask_b32_e32 v18, v8, v10, vcc
	v_mul_f32_e32 v9, s12, v9
	v_cmp_ne_u32_e32 vcc, s0, v1
	v_cndmask_b32_e32 v17, v8, v9, vcc
.LBB10_7:
	s_or_b64 exec, exec, s[4:5]
	v_add_u32_e32 v1, 0x80, v0
	v_cmp_gt_i32_e32 vcc, s14, v1
	v_mov_b32_e32 v21, 0xff800000
	v_mov_b32_e32 v24, 0xff800000
	v_mov_b32_e32 v23, 0xff800000
	v_mov_b32_e32 v22, 0xff800000
	s_and_saveexec_b64 s[0:1], vcc
	s_cbranch_execz .LBB10_11
; %bb.8:
	global_load_dword v1, v[6:7], off offset:128
	global_load_dword v10, v[4:5], off offset:258
	global_load_ushort v9, v[4:5], off offset:262
	v_mov_b32_e32 v11, 1
	v_mov_b32_e32 v8, 0xc61c4000
	v_mov_b32_e32 v21, 0xc61c4000
	s_waitcnt vmcnt(2)
	v_cmp_ne_u32_sdwa s[6:7], v1, v11 src0_sel:BYTE_0 src1_sel:DWORD
	s_and_saveexec_b64 s[4:5], s[6:7]
	s_cbranch_execz .LBB10_10
; %bb.9:
	global_load_ushort v11, v[4:5], off offset:256
	s_waitcnt vmcnt(0)
	v_cvt_f32_f16_e32 v11, v11
	v_mul_f32_e32 v21, s12, v11
.LBB10_10:
	s_or_b64 exec, exec, s[4:5]
	s_waitcnt vmcnt(1)
	v_cvt_f32_f16_e32 v11, v10
	v_cvt_f32_f16_sdwa v10, v10 dst_sel:DWORD dst_unused:UNUSED_PAD src0_sel:WORD_1
	v_and_b32_e32 v12, 0xff00, v1
	s_movk_i32 s4, 0x100
	s_waitcnt vmcnt(0)
	v_cvt_f32_f16_e32 v9, v9
	v_mul_f32_e32 v11, s12, v11
	v_cmp_ne_u32_e32 vcc, s4, v12
	v_cndmask_b32_e32 v24, v8, v11, vcc
	v_and_b32_e32 v11, 0xff0000, v1
	s_mov_b32 s4, 0x10000
	v_mul_f32_e32 v10, s12, v10
	v_cmp_ne_u32_e32 vcc, s4, v11
	v_and_b32_e32 v1, 0xff000000, v1
	s_mov_b32 s4, 0x1000000
	v_cndmask_b32_e32 v23, v8, v10, vcc
	v_mul_f32_e32 v9, s12, v9
	v_cmp_ne_u32_e32 vcc, s4, v1
	v_cndmask_b32_e32 v22, v8, v9, vcc
.LBB10_11:
	s_or_b64 exec, exec, s[0:1]
	v_add_u32_e32 v1, 0x100, v0
	v_cmp_gt_i32_e32 vcc, s14, v1
	v_mov_b32_e32 v26, 0xff800000
	v_mov_b32_e32 v29, 0xff800000
	v_mov_b32_e32 v28, 0xff800000
	v_mov_b32_e32 v27, 0xff800000
	s_and_saveexec_b64 s[0:1], vcc
	s_cbranch_execz .LBB10_15
; %bb.12:
	global_load_dword v1, v[6:7], off offset:256
	global_load_dword v10, v[4:5], off offset:514
	global_load_ushort v9, v[4:5], off offset:518
	v_mov_b32_e32 v11, 1
	v_mov_b32_e32 v8, 0xc61c4000
	v_mov_b32_e32 v26, 0xc61c4000
	s_waitcnt vmcnt(2)
	v_cmp_ne_u32_sdwa s[6:7], v1, v11 src0_sel:BYTE_0 src1_sel:DWORD
	s_and_saveexec_b64 s[4:5], s[6:7]
	s_cbranch_execz .LBB10_14
; %bb.13:
	global_load_ushort v11, v[4:5], off offset:512
	s_waitcnt vmcnt(0)
	v_cvt_f32_f16_e32 v11, v11
	v_mul_f32_e32 v26, s12, v11
.LBB10_14:
	s_or_b64 exec, exec, s[4:5]
	s_waitcnt vmcnt(1)
	v_cvt_f32_f16_e32 v11, v10
	v_cvt_f32_f16_sdwa v10, v10 dst_sel:DWORD dst_unused:UNUSED_PAD src0_sel:WORD_1
	v_and_b32_e32 v12, 0xff00, v1
	s_movk_i32 s4, 0x100
	s_waitcnt vmcnt(0)
	v_cvt_f32_f16_e32 v9, v9
	v_mul_f32_e32 v11, s12, v11
	v_cmp_ne_u32_e32 vcc, s4, v12
	v_cndmask_b32_e32 v29, v8, v11, vcc
	v_and_b32_e32 v11, 0xff0000, v1
	s_mov_b32 s4, 0x10000
	v_mul_f32_e32 v10, s12, v10
	v_cmp_ne_u32_e32 vcc, s4, v11
	v_and_b32_e32 v1, 0xff000000, v1
	s_mov_b32 s4, 0x1000000
	v_cndmask_b32_e32 v28, v8, v10, vcc
	v_mul_f32_e32 v9, s12, v9
	v_cmp_ne_u32_e32 vcc, s4, v1
	v_cndmask_b32_e32 v27, v8, v9, vcc
.LBB10_15:
	;; [unrolled: 48-line block ×5, first 2 shown]
	s_or_b64 exec, exec, s[0:1]
	v_add_u32_e32 v1, 0x300, v0
	v_cmp_gt_i32_e32 vcc, s14, v1
	v_mov_b32_e32 v9, 0xff800000
	v_mov_b32_e32 v12, 0xff800000
	;; [unrolled: 1-line block ×4, first 2 shown]
	s_and_saveexec_b64 s[0:1], vcc
	s_cbranch_execz .LBB10_31
; %bb.28:
	global_load_dword v1, v[6:7], off offset:768
	global_load_dword v11, v[4:5], off offset:1538
	global_load_ushort v10, v[4:5], off offset:1542
	v_mov_b32_e32 v9, 1
	v_mov_b32_e32 v8, 0xc61c4000
	s_waitcnt vmcnt(2)
	v_cmp_ne_u32_sdwa s[6:7], v1, v9 src0_sel:BYTE_0 src1_sel:DWORD
	v_mov_b32_e32 v9, 0xc61c4000
	s_and_saveexec_b64 s[4:5], s[6:7]
	s_cbranch_execz .LBB10_30
; %bb.29:
	global_load_ushort v9, v[4:5], off offset:1536
	s_waitcnt vmcnt(0)
	v_cvt_f32_f16_e32 v9, v9
	v_mul_f32_e32 v9, s12, v9
.LBB10_30:
	s_or_b64 exec, exec, s[4:5]
	s_waitcnt vmcnt(1)
	v_cvt_f32_f16_e32 v12, v11
	v_cvt_f32_f16_sdwa v11, v11 dst_sel:DWORD dst_unused:UNUSED_PAD src0_sel:WORD_1
	s_waitcnt vmcnt(0)
	v_cvt_f32_f16_e32 v10, v10
	v_and_b32_e32 v13, 0xff00, v1
	s_movk_i32 s4, 0x100
	v_mul_f32_e32 v12, s12, v12
	v_cmp_ne_u32_e32 vcc, s4, v13
	v_and_b32_e32 v13, 0xff0000, v1
	s_mov_b32 s4, 0x10000
	v_cndmask_b32_e32 v12, v8, v12, vcc
	v_mul_f32_e32 v11, s12, v11
	v_cmp_ne_u32_e32 vcc, s4, v13
	v_and_b32_e32 v1, 0xff000000, v1
	s_mov_b32 s4, 0x1000000
	v_cndmask_b32_e32 v11, v8, v11, vcc
	v_mul_f32_e32 v10, s12, v10
	v_cmp_ne_u32_e32 vcc, s4, v1
	v_cndmask_b32_e32 v10, v8, v10, vcc
.LBB10_31:
	s_or_b64 exec, exec, s[0:1]
	v_add_u32_e32 v1, 0x380, v0
	v_cmp_gt_i32_e32 vcc, s14, v1
	v_mov_b32_e32 v13, 0xff800000
	v_mov_b32_e32 v16, 0xff800000
	;; [unrolled: 1-line block ×4, first 2 shown]
	s_and_saveexec_b64 s[0:1], vcc
	s_cbranch_execz .LBB10_35
; %bb.32:
	global_load_dword v1, v[6:7], off offset:896
	global_load_dword v8, v[4:5], off offset:1794
	s_nop 0
	global_load_ushort v7, v[4:5], off offset:1798
	v_mov_b32_e32 v13, 1
	v_mov_b32_e32 v6, 0xc61c4000
	s_waitcnt vmcnt(2)
	v_cmp_ne_u32_sdwa s[6:7], v1, v13 src0_sel:BYTE_0 src1_sel:DWORD
	v_mov_b32_e32 v13, 0xc61c4000
	s_and_saveexec_b64 s[4:5], s[6:7]
	s_cbranch_execz .LBB10_34
; %bb.33:
	global_load_ushort v4, v[4:5], off offset:1792
	s_waitcnt vmcnt(0)
	v_cvt_f32_f16_e32 v4, v4
	v_mul_f32_e32 v13, s12, v4
.LBB10_34:
	s_or_b64 exec, exec, s[4:5]
	s_waitcnt vmcnt(1)
	v_cvt_f32_f16_e32 v4, v8
	v_cvt_f32_f16_sdwa v8, v8 dst_sel:DWORD dst_unused:UNUSED_PAD src0_sel:WORD_1
	v_and_b32_e32 v5, 0xff00, v1
	s_movk_i32 s4, 0x100
	s_waitcnt vmcnt(0)
	v_cvt_f32_f16_e32 v7, v7
	v_mul_f32_e32 v4, s12, v4
	v_cmp_ne_u32_e32 vcc, s4, v5
	v_cndmask_b32_e32 v16, v6, v4, vcc
	v_and_b32_e32 v4, 0xff0000, v1
	s_mov_b32 s4, 0x10000
	v_mul_f32_e32 v5, s12, v8
	v_cmp_ne_u32_e32 vcc, s4, v4
	v_and_b32_e32 v1, 0xff000000, v1
	s_mov_b32 s4, 0x1000000
	v_cndmask_b32_e32 v15, v6, v5, vcc
	v_mul_f32_e32 v4, s12, v7
	v_cmp_ne_u32_e32 vcc, s4, v1
	v_cndmask_b32_e32 v14, v6, v4, vcc
.LBB10_35:
	s_or_b64 exec, exec, s[0:1]
.LBB10_36:
	s_waitcnt lgkmcnt(0)
	v_writelane_b32 v57, s16, 6
	v_writelane_b32 v57, s17, 7
	;; [unrolled: 1-line block ×4, first 2 shown]
	s_or_b64 exec, exec, s[2:3]
	v_cmp_gt_f32_e64 s[0:1], v19, v20
	v_cndmask_b32_e64 v1, v20, v19, s[0:1]
	v_cmp_gt_f32_e64 s[0:1], v1, v18
	v_cndmask_b32_e64 v1, v18, v1, s[0:1]
	;; [unrolled: 2-line block ×31, first 2 shown]
	v_mbcnt_lo_u32_b32 v1, -1, 0
	v_mbcnt_hi_u32_b32 v6, -1, v1
	v_and_b32_e32 v1, 0x60, v6
	v_add_u32_e32 v8, 32, v1
	v_xor_b32_e32 v1, 16, v6
	v_cmp_lt_i32_e64 s[0:1], v1, v8
	v_cndmask_b32_e64 v1, v6, v1, s[0:1]
	v_lshlrev_b32_e32 v1, 2, v1
	ds_bpermute_b32 v5, v1, v4
	s_mov_b32 s15, 0x3fb8aa3b
	s_mov_b32 s33, 0xc2ce8ed0
	s_waitcnt lgkmcnt(0)
	v_cmp_lt_f32_e64 s[0:1], v4, v5
	v_cndmask_b32_e64 v5, v4, v5, s[0:1]
	v_xor_b32_e32 v4, 8, v6
	v_cmp_lt_i32_e64 s[0:1], v4, v8
	v_cndmask_b32_e64 v4, v6, v4, s[0:1]
	v_lshlrev_b32_e32 v4, 2, v4
	ds_bpermute_b32 v7, v4, v5
	s_waitcnt lgkmcnt(0)
	v_cmp_lt_f32_e64 s[0:1], v5, v7
	v_cndmask_b32_e64 v7, v5, v7, s[0:1]
	v_xor_b32_e32 v5, 4, v6
	v_cmp_lt_i32_e64 s[0:1], v5, v8
	v_cndmask_b32_e64 v5, v6, v5, s[0:1]
	v_lshlrev_b32_e32 v5, 2, v5
	ds_bpermute_b32 v25, v5, v7
	;; [unrolled: 8-line block ×4, first 2 shown]
	s_waitcnt lgkmcnt(0)
	v_cmp_lt_f32_e64 s[0:1], v25, v6
	v_cndmask_b32_e64 v6, v25, v6, s[0:1]
	v_sub_f32_e32 v25, v19, v6
	v_mul_f32_e32 v19, 0x3fb8aa3b, v25
	v_fma_f32 v42, v25, s15, -v19
	v_rndne_f32_e32 v43, v19
	v_fmac_f32_e32 v42, 0x32a5705f, v25
	v_sub_f32_e32 v19, v19, v43
	v_add_f32_e32 v19, v19, v42
	v_exp_f32_e32 v19, v19
	v_cvt_i32_f32_e32 v42, v43
	s_mov_b32 s0, 0x42b17218
	v_sub_f32_e32 v18, v18, v6
	v_sub_f32_e32 v17, v17, v6
	v_ldexp_f32 v19, v19, v42
	v_sub_f32_e32 v42, v20, v6
	v_mul_f32_e32 v20, 0x3fb8aa3b, v42
	v_fma_f32 v43, v42, s15, -v20
	v_rndne_f32_e32 v44, v20
	v_fmac_f32_e32 v43, 0x32a5705f, v42
	v_sub_f32_e32 v20, v20, v44
	v_add_f32_e32 v20, v20, v43
	v_exp_f32_e32 v20, v20
	v_cvt_i32_f32_e32 v43, v44
	v_cmp_ngt_f32_e64 s[46:47], s33, v42
	v_cmp_nlt_f32_e64 s[2:3], s0, v42
	v_mul_f32_e32 v42, 0x3fb8aa3b, v18
	v_ldexp_f32 v20, v20, v43
	v_fma_f32 v43, v18, s15, -v42
	v_rndne_f32_e32 v44, v42
	v_fmac_f32_e32 v43, 0x32a5705f, v18
	v_sub_f32_e32 v42, v42, v44
	v_add_f32_e32 v42, v42, v43
	v_exp_f32_e32 v42, v42
	v_cvt_i32_f32_e32 v43, v44
	v_writelane_b32 v57, s2, 2
	v_writelane_b32 v57, s3, 3
	v_cmp_ngt_f32_e64 s[50:51], s33, v18
	v_cmp_nlt_f32_e64 s[2:3], s0, v18
	v_mul_f32_e32 v18, 0x3fb8aa3b, v17
	v_ldexp_f32 v42, v42, v43
	v_fma_f32 v43, v17, s15, -v18
	v_rndne_f32_e32 v44, v18
	v_fmac_f32_e32 v43, 0x32a5705f, v17
	v_sub_f32_e32 v18, v18, v44
	v_add_f32_e32 v18, v18, v43
	v_exp_f32_e32 v18, v18
	v_cvt_i32_f32_e32 v43, v44
	v_cmp_ngt_f32_e64 s[48:49], s33, v17
	v_cmp_nlt_f32_e64 s[4:5], s0, v17
	v_sub_f32_e32 v17, v21, v6
	v_ldexp_f32 v43, v18, v43
	v_mul_f32_e32 v18, 0x3fb8aa3b, v17
	v_fma_f32 v21, v17, s15, -v18
	v_rndne_f32_e32 v44, v18
	v_fmac_f32_e32 v21, 0x32a5705f, v17
	v_sub_f32_e32 v18, v18, v44
	v_add_f32_e32 v18, v18, v21
	v_exp_f32_e32 v18, v18
	v_cvt_i32_f32_e32 v21, v44
	v_cmp_ngt_f32_e64 s[54:55], s33, v17
	v_cmp_nlt_f32_e64 s[6:7], s0, v17
	v_sub_f32_e32 v17, v24, v6
	v_ldexp_f32 v44, v18, v21
	v_mul_f32_e32 v18, 0x3fb8aa3b, v17
	;; [unrolled: 12-line block ×5, first 2 shown]
	v_fma_f32 v24, v17, s15, -v18
	v_rndne_f32_e32 v26, v18
	v_fmac_f32_e32 v24, 0x32a5705f, v17
	v_sub_f32_e32 v18, v18, v26
	v_add_f32_e32 v18, v18, v24
	v_exp_f32_e32 v18, v18
	v_cvt_i32_f32_e32 v24, v26
	v_writelane_b32 v57, s2, 4
	v_writelane_b32 v57, s3, 5
	v_cmp_ngt_f32_e64 s[62:63], s33, v17
	v_cmp_nlt_f32_e64 s[2:3], s0, v17
	v_sub_f32_e32 v17, v29, v6
	v_ldexp_f32 v26, v18, v24
	v_mul_f32_e32 v18, 0x3fb8aa3b, v17
	v_fma_f32 v24, v17, s15, -v18
	v_rndne_f32_e32 v29, v18
	v_fmac_f32_e32 v24, 0x32a5705f, v17
	v_sub_f32_e32 v18, v18, v29
	v_add_f32_e32 v18, v18, v24
	v_exp_f32_e32 v18, v18
	v_cvt_i32_f32_e32 v24, v29
	v_cmp_ngt_f32_e64 s[60:61], s33, v17
	v_cmp_nlt_f32_e64 s[16:17], s0, v17
	v_sub_f32_e32 v17, v28, v6
	v_ldexp_f32 v24, v18, v24
	v_mul_f32_e32 v18, 0x3fb8aa3b, v17
	v_fma_f32 v28, v17, s15, -v18
	v_rndne_f32_e32 v29, v18
	v_fmac_f32_e32 v28, 0x32a5705f, v17
	v_sub_f32_e32 v18, v18, v29
	v_add_f32_e32 v18, v18, v28
	v_exp_f32_e32 v18, v18
	v_cvt_i32_f32_e32 v28, v29
	v_cmp_ngt_f32_e64 s[66:67], s33, v17
	v_cmp_nlt_f32_e64 s[18:19], s0, v17
	v_sub_f32_e32 v17, v27, v6
	v_ldexp_f32 v28, v18, v28
	v_mul_f32_e32 v18, 0x3fb8aa3b, v17
	v_fma_f32 v27, v17, s15, -v18
	v_rndne_f32_e32 v29, v18
	v_fmac_f32_e32 v27, 0x32a5705f, v17
	v_sub_f32_e32 v18, v18, v29
	v_add_f32_e32 v18, v18, v27
	v_exp_f32_e32 v18, v18
	v_cvt_i32_f32_e32 v27, v29
	v_cmp_ngt_f32_e64 s[64:65], s33, v17
	v_cmp_nlt_f32_e64 s[20:21], s0, v17
	v_sub_f32_e32 v17, v30, v6
	v_ldexp_f32 v27, v18, v27
	v_mul_f32_e32 v18, 0x3fb8aa3b, v17
	v_fma_f32 v29, v17, s15, -v18
	v_rndne_f32_e32 v30, v18
	v_fmac_f32_e32 v29, 0x32a5705f, v17
	v_sub_f32_e32 v18, v18, v30
	v_add_f32_e32 v18, v18, v29
	v_exp_f32_e32 v18, v18
	v_cvt_i32_f32_e32 v29, v30
	v_cmp_ngt_f32_e64 s[70:71], s33, v17
	v_cmp_nlt_f32_e64 s[22:23], s0, v17
	v_sub_f32_e32 v17, v33, v6
	v_ldexp_f32 v30, v18, v29
	v_mul_f32_e32 v18, 0x3fb8aa3b, v17
	v_fma_f32 v29, v17, s15, -v18
	v_rndne_f32_e32 v33, v18
	v_fmac_f32_e32 v29, 0x32a5705f, v17
	v_sub_f32_e32 v18, v18, v33
	v_add_f32_e32 v18, v18, v29
	v_exp_f32_e32 v18, v18
	v_cvt_i32_f32_e32 v29, v33
	v_cmp_ngt_f32_e64 s[68:69], s33, v17
	v_cmp_nlt_f32_e64 s[24:25], s0, v17
	v_sub_f32_e32 v17, v32, v6
	v_ldexp_f32 v29, v18, v29
	v_mul_f32_e32 v18, 0x3fb8aa3b, v17
	v_fma_f32 v32, v17, s15, -v18
	v_rndne_f32_e32 v33, v18
	v_fmac_f32_e32 v32, 0x32a5705f, v17
	v_sub_f32_e32 v18, v18, v33
	v_add_f32_e32 v18, v18, v32
	v_exp_f32_e32 v18, v18
	v_cvt_i32_f32_e32 v32, v33
	v_cmp_ngt_f32_e64 s[76:77], s33, v17
	v_cmp_nlt_f32_e64 s[26:27], s0, v17
	v_sub_f32_e32 v17, v31, v6
	v_ldexp_f32 v33, v18, v32
	v_mul_f32_e32 v18, 0x3fb8aa3b, v17
	v_fma_f32 v31, v17, s15, -v18
	v_rndne_f32_e32 v32, v18
	v_fmac_f32_e32 v31, 0x32a5705f, v17
	v_sub_f32_e32 v18, v18, v32
	v_add_f32_e32 v18, v18, v31
	v_exp_f32_e32 v18, v18
	v_cvt_i32_f32_e32 v31, v32
	v_cmp_ngt_f32_e64 s[72:73], s33, v17
	v_cmp_nlt_f32_e64 s[28:29], s0, v17
	v_sub_f32_e32 v17, v34, v6
	v_ldexp_f32 v31, v18, v31
	v_mul_f32_e32 v18, 0x3fb8aa3b, v17
	v_fma_f32 v32, v17, s15, -v18
	v_rndne_f32_e32 v34, v18
	v_fmac_f32_e32 v32, 0x32a5705f, v17
	v_sub_f32_e32 v18, v18, v34
	v_add_f32_e32 v18, v18, v32
	v_exp_f32_e32 v18, v18
	v_cvt_i32_f32_e32 v32, v34
	v_cmp_ngt_f32_e64 s[74:75], s33, v17
	v_cmp_nlt_f32_e64 s[30:31], s0, v17
	v_sub_f32_e32 v17, v37, v6
	v_ldexp_f32 v32, v18, v32
	v_mul_f32_e32 v18, 0x3fb8aa3b, v17
	v_fma_f32 v34, v17, s15, -v18
	v_rndne_f32_e32 v37, v18
	v_fmac_f32_e32 v34, 0x32a5705f, v17
	v_sub_f32_e32 v18, v18, v37
	v_add_f32_e32 v18, v18, v34
	v_exp_f32_e32 v18, v18
	v_cvt_i32_f32_e32 v34, v37
	v_cmp_ngt_f32_e64 s[78:79], s33, v17
	v_cmp_nlt_f32_e64 s[34:35], s0, v17
	v_sub_f32_e32 v17, v36, v6
	v_ldexp_f32 v34, v18, v34
	v_mul_f32_e32 v18, 0x3fb8aa3b, v17
	v_fma_f32 v36, v17, s15, -v18
	v_rndne_f32_e32 v37, v18
	v_fmac_f32_e32 v36, 0x32a5705f, v17
	v_sub_f32_e32 v18, v18, v37
	v_add_f32_e32 v18, v18, v36
	v_exp_f32_e32 v18, v18
	v_cvt_i32_f32_e32 v36, v37
	v_cmp_ngt_f32_e64 s[80:81], s33, v17
	v_cmp_nlt_f32_e64 s[36:37], s0, v17
	v_sub_f32_e32 v17, v35, v6
	v_ldexp_f32 v36, v18, v36
	v_mul_f32_e32 v18, 0x3fb8aa3b, v17
	v_fma_f32 v35, v17, s15, -v18
	v_rndne_f32_e32 v37, v18
	v_fmac_f32_e32 v35, 0x32a5705f, v17
	v_sub_f32_e32 v18, v18, v37
	v_add_f32_e32 v18, v18, v35
	v_exp_f32_e32 v18, v18
	v_cvt_i32_f32_e32 v35, v37
	v_cmp_ngt_f32_e64 s[82:83], s33, v17
	v_cmp_nlt_f32_e64 s[38:39], s0, v17
	v_sub_f32_e32 v17, v38, v6
	v_ldexp_f32 v35, v18, v35
	v_mul_f32_e32 v18, 0x3fb8aa3b, v17
	v_fma_f32 v37, v17, s15, -v18
	v_rndne_f32_e32 v38, v18
	v_fmac_f32_e32 v37, 0x32a5705f, v17
	v_sub_f32_e32 v18, v18, v38
	v_add_f32_e32 v18, v18, v37
	v_exp_f32_e32 v18, v18
	v_cvt_i32_f32_e32 v37, v38
	v_cmp_ngt_f32_e64 s[84:85], s33, v17
	v_cmp_nlt_f32_e64 s[40:41], s0, v17
	v_sub_f32_e32 v17, v41, v6
	v_ldexp_f32 v37, v18, v37
	v_mul_f32_e32 v18, 0x3fb8aa3b, v17
	v_fma_f32 v38, v17, s15, -v18
	v_rndne_f32_e32 v41, v18
	v_fmac_f32_e32 v38, 0x32a5705f, v17
	v_sub_f32_e32 v18, v18, v41
	v_add_f32_e32 v18, v18, v38
	v_exp_f32_e32 v18, v18
	v_cvt_i32_f32_e32 v38, v41
	v_cmp_ngt_f32_e64 s[86:87], s33, v17
	v_cmp_nlt_f32_e64 s[42:43], s0, v17
	v_sub_f32_e32 v17, v40, v6
	v_ldexp_f32 v38, v18, v38
	v_mul_f32_e32 v18, 0x3fb8aa3b, v17
	v_fma_f32 v40, v17, s15, -v18
	v_rndne_f32_e32 v41, v18
	v_fmac_f32_e32 v40, 0x32a5705f, v17
	v_sub_f32_e32 v18, v18, v41
	v_add_f32_e32 v18, v18, v40
	v_exp_f32_e32 v18, v18
	v_cvt_i32_f32_e32 v40, v41
	v_sub_f32_e32 v41, v39, v6
	v_cmp_ngt_f32_e64 s[88:89], s33, v17
	v_cmp_nlt_f32_e64 s[44:45], s0, v17
	v_ldexp_f32 v40, v18, v40
	v_mul_f32_e32 v18, 0x3fb8aa3b, v41
	v_fma_f32 v17, v41, s15, -v18
	v_rndne_f32_e32 v39, v18
	v_fmac_f32_e32 v17, 0x32a5705f, v41
	v_sub_f32_e32 v18, v18, v39
	v_add_f32_e32 v17, v18, v17
	v_exp_f32_e32 v17, v17
	v_cvt_i32_f32_e32 v18, v39
	v_cmp_ngt_f32_e64 s[90:91], s33, v41
	v_ldexp_f32 v39, v17, v18
	v_cndmask_b32_e64 v17, 0, v42, s[50:51]
	v_sub_f32_e32 v42, v9, v6
	v_mul_f32_e32 v9, 0x3fb8aa3b, v42
	v_cndmask_b32_e64 v18, 0, v20, s[46:47]
	v_cmp_nlt_f32_e64 s[46:47], s0, v41
	v_fma_f32 v20, v42, s15, -v9
	v_rndne_f32_e32 v41, v9
	v_fmac_f32_e32 v20, 0x32a5705f, v42
	v_sub_f32_e32 v9, v9, v41
	v_add_f32_e32 v9, v9, v20
	v_exp_f32_e32 v9, v9
	v_cvt_i32_f32_e32 v20, v41
	v_cmp_ngt_f32_e64 s[92:93], s33, v42
	v_ldexp_f32 v41, v9, v20
	v_cndmask_b32_e64 v9, 0, v43, s[48:49]
	v_sub_f32_e32 v43, v12, v6
	v_mul_f32_e32 v12, 0x3fb8aa3b, v43
	v_cndmask_b32_e64 v20, 0, v44, s[54:55]
	v_cmp_nlt_f32_e64 s[48:49], s0, v42
	v_fma_f32 v42, v43, s15, -v12
	v_rndne_f32_e32 v44, v12
	v_fmac_f32_e32 v42, 0x32a5705f, v43
	v_sub_f32_e32 v12, v12, v44
	v_add_f32_e32 v12, v12, v42
	v_exp_f32_e32 v12, v12
	v_cvt_i32_f32_e32 v42, v44
	v_cmp_ngt_f32_e64 s[94:95], s33, v43
	v_cmp_nlt_f32_e64 s[50:51], s0, v43
	v_ldexp_f32 v42, v12, v42
	v_cndmask_b32_e64 v12, 0, v21, s[52:53]
	v_cndmask_b32_e64 v21, 0, v23, s[58:59]
	v_sub_f32_e32 v23, v11, v6
	v_mul_f32_e32 v11, 0x3fb8aa3b, v23
	v_fma_f32 v43, v23, s15, -v11
	v_rndne_f32_e32 v44, v11
	v_fmac_f32_e32 v43, 0x32a5705f, v23
	v_sub_f32_e32 v11, v11, v44
	v_add_f32_e32 v11, v11, v43
	v_exp_f32_e32 v11, v11
	v_cvt_i32_f32_e32 v43, v44
	v_cmp_ngt_f32_e32 vcc, s33, v23
	v_cmp_nlt_f32_e64 s[52:53], s0, v23
	v_ldexp_f32 v43, v11, v43
	v_cndmask_b32_e64 v11, 0, v22, s[56:57]
	v_cndmask_b32_e64 v22, 0, v26, s[62:63]
	v_sub_f32_e32 v26, v10, v6
	v_mul_f32_e32 v10, 0x3fb8aa3b, v26
	v_fma_f32 v23, v26, s15, -v10
	v_rndne_f32_e32 v44, v10
	v_fmac_f32_e32 v23, 0x32a5705f, v26
	v_sub_f32_e32 v10, v10, v44
	v_add_f32_e32 v10, v10, v23
	v_exp_f32_e32 v10, v10
	v_cvt_i32_f32_e32 v23, v44
	v_cmp_nlt_f32_e64 s[54:55], s0, v26
	v_ldexp_f32 v44, v10, v23
	v_cndmask_b32_e64 v23, 0, v28, s[66:67]
	v_sub_f32_e32 v28, v13, v6
	v_mul_f32_e32 v13, 0x3fb8aa3b, v28
	v_cndmask_b32_e64 v10, 0, v24, s[60:61]
	v_cmp_ngt_f32_e64 s[66:67], s33, v26
	v_fma_f32 v24, v28, s15, -v13
	v_rndne_f32_e32 v26, v13
	v_fmac_f32_e32 v24, 0x32a5705f, v28
	v_sub_f32_e32 v13, v13, v26
	v_add_f32_e32 v13, v13, v24
	v_exp_f32_e32 v13, v13
	v_cvt_i32_f32_e32 v24, v26
	v_cmp_nlt_f32_e64 s[56:57], s0, v28
	v_ldexp_f32 v45, v13, v24
	v_cndmask_b32_e64 v13, 0, v27, s[64:65]
	v_sub_f32_e32 v27, v16, v6
	v_mul_f32_e32 v16, 0x3fb8aa3b, v27
	v_cndmask_b32_e64 v24, 0, v30, s[70:71]
	v_cmp_ngt_f32_e64 s[70:71], s33, v28
	v_fma_f32 v26, v27, s15, -v16
	v_rndne_f32_e32 v28, v16
	v_fmac_f32_e32 v26, 0x32a5705f, v27
	v_sub_f32_e32 v16, v16, v28
	v_add_f32_e32 v16, v16, v26
	v_exp_f32_e32 v16, v16
	v_cvt_i32_f32_e32 v26, v28
	v_sub_f32_e32 v28, v15, v6
	v_mul_f32_e32 v15, 0x3fb8aa3b, v28
	v_cmp_nlt_f32_e64 s[58:59], s0, v27
	v_ldexp_f32 v46, v16, v26
	v_cndmask_b32_e64 v16, 0, v29, s[68:69]
	v_cmp_ngt_f32_e64 s[68:69], s33, v27
	v_fma_f32 v27, v28, s15, -v15
	v_rndne_f32_e32 v29, v15
	v_fmac_f32_e32 v27, 0x32a5705f, v28
	v_sub_f32_e32 v15, v15, v29
	v_add_f32_e32 v15, v15, v27
	v_exp_f32_e32 v15, v15
	v_cvt_i32_f32_e32 v27, v29
	v_sub_f32_e32 v29, v14, v6
	v_mul_f32_e32 v14, 0x3fb8aa3b, v29
	v_cmp_nlt_f32_e64 s[60:61], s0, v28
	v_ldexp_f32 v47, v15, v27
	v_cndmask_b32_e64 v15, 0, v31, s[72:73]
	v_cmp_ngt_f32_e64 s[72:73], s33, v28
	v_fma_f32 v27, v29, s15, -v14
	v_rndne_f32_e32 v28, v14
	v_fmac_f32_e32 v27, 0x32a5705f, v29
	v_sub_f32_e32 v14, v14, v28
	v_add_f32_e32 v14, v14, v27
	v_exp_f32_e32 v27, v14
	v_cvt_i32_f32_e32 v28, v28
	v_cmp_nlt_f32_e64 s[62:63], s0, v29
	v_cmp_nlt_f32_e64 s[64:65], s0, v25
	v_readlane_b32 s0, v57, 2
	v_cndmask_b32_e64 v26, 0, v33, s[76:77]
	v_cndmask_b32_e64 v14, 0, v32, s[74:75]
	v_cmp_ngt_f32_e64 s[76:77], s33, v25
	v_cndmask_b32_e64 v32, 0, v46, s[68:69]
	v_mov_b32_e32 v46, 0x7f800000
	v_readlane_b32 s1, v57, 3
	v_ldexp_f32 v48, v27, v28
	v_cmp_ngt_f32_e64 s[74:75], s33, v29
	v_cndmask_b32_e64 v19, 0, v19, s[76:77]
	v_cndmask_b32_e64 v55, v46, v18, s[0:1]
	v_readlane_b32 s0, v57, 4
	v_cndmask_b32_e64 v25, 0, v48, s[74:75]
	v_cndmask_b32_e64 v56, v46, v19, s[64:65]
	v_readlane_b32 s1, v57, 5
	v_cndmask_b32_e64 v54, v46, v17, s[0:1]
	v_cndmask_b32_e64 v53, v46, v9, s[4:5]
	v_cndmask_b32_e64 v9, v46, v25, s[62:63]
	v_add_f32_e32 v25, v56, v55
	v_add_f32_e32 v25, v25, v54
	v_cndmask_b32_e64 v52, v46, v20, s[6:7]
	v_add_f32_e32 v25, v25, v53
	v_cndmask_b32_e64 v51, v46, v12, s[8:9]
	;; [unrolled: 2-line block ×6, first 2 shown]
	v_cndmask_b32_e64 v47, v46, v10, s[16:17]
	v_add_f32_e32 v25, v25, v48
	v_cndmask_b32_e64 v27, 0, v34, s[78:79]
	v_cndmask_b32_e64 v34, 0, v40, s[88:89]
	;; [unrolled: 1-line block ×4, first 2 shown]
	v_add_f32_e32 v25, v25, v47
	v_cndmask_b32_e64 v29, 0, v35, s[82:83]
	v_cndmask_b32_e64 v35, 0, v39, s[90:91]
	;; [unrolled: 1-line block ×4, first 2 shown]
	v_add_f32_e32 v25, v25, v45
	v_cndmask_b32_e64 v33, 0, v38, s[86:87]
	v_cndmask_b32_e32 v38, 0, v43, vcc
	v_cndmask_b32_e64 v43, v46, v24, s[22:23]
	v_add_f32_e32 v25, v25, v44
	v_cndmask_b32_e64 v30, 0, v37, s[84:85]
	v_cndmask_b32_e64 v37, 0, v42, s[94:95]
	;; [unrolled: 1-line block ×3, first 2 shown]
	v_add_f32_e32 v25, v25, v43
	v_cndmask_b32_e64 v28, 0, v36, s[80:81]
	v_cndmask_b32_e64 v36, 0, v41, s[92:93]
	;; [unrolled: 1-line block ×3, first 2 shown]
	v_add_f32_e32 v25, v25, v42
	v_cndmask_b32_e64 v26, v46, v15, s[28:29]
	v_add_f32_e32 v25, v25, v41
	v_cndmask_b32_e64 v24, v46, v14, s[30:31]
	;; [unrolled: 2-line block ×16, first 2 shown]
	v_add_f32_e32 v25, v25, v11
	v_add_f32_e32 v25, v25, v10
	;; [unrolled: 1-line block ×3, first 2 shown]
	ds_bpermute_b32 v1, v1, v25
	v_readlane_b32 s0, v57, 0
	v_cmp_gt_i32_e32 vcc, s14, v0
	v_readlane_b32 s1, v57, 1
	s_and_b64 s[0:1], s[0:1], vcc
	s_waitcnt lgkmcnt(0)
	v_add_f32_e32 v1, v25, v1
	ds_bpermute_b32 v4, v4, v1
	s_waitcnt lgkmcnt(0)
	v_add_f32_e32 v1, v1, v4
	ds_bpermute_b32 v4, v5, v1
	s_waitcnt lgkmcnt(0)
	v_add_f32_e32 v1, v1, v4
	ds_bpermute_b32 v4, v7, v1
	s_waitcnt lgkmcnt(0)
	v_add_f32_e32 v1, v1, v4
	ds_bpermute_b32 v4, v8, v1
	s_and_saveexec_b64 s[2:3], s[0:1]
	s_cbranch_execz .LBB10_109
; %bb.37:
	s_mov_b32 s0, 0xc61c4000
	v_cmp_neq_f32_e64 s[0:1], s0, v6
	s_waitcnt lgkmcnt(0)
	v_add_f32_e32 v4, v1, v4
	v_mov_b32_e32 v5, 0
	v_mov_b32_e32 v6, 0
	s_and_saveexec_b64 s[2:3], s[0:1]
	s_cbranch_execz .LBB10_39
; %bb.38:
	v_div_scale_f32 v1, s[4:5], v4, v4, v56
	v_div_scale_f32 v6, vcc, v56, v4, v56
	v_rcp_f32_e32 v7, v1
	v_fma_f32 v8, -v1, v7, 1.0
	v_fmac_f32_e32 v7, v8, v7
	v_mul_f32_e32 v8, v6, v7
	v_fma_f32 v25, -v1, v8, v6
	v_fmac_f32_e32 v8, v25, v7
	v_fma_f32 v1, -v1, v8, v6
	v_div_fmas_f32 v1, v1, v7, v8
	v_div_fixup_f32 v1, v1, v4, v56
	v_cvt_f16_f32_e32 v6, v1
.LBB10_39:
	s_or_b64 exec, exec, s[2:3]
	s_and_saveexec_b64 s[2:3], s[0:1]
	v_readlane_b32 s8, v57, 6
	v_readlane_b32 s9, v57, 7
	;; [unrolled: 1-line block ×4, first 2 shown]
	s_cbranch_execz .LBB10_41
; %bb.40:
	v_div_scale_f32 v1, s[4:5], v4, v4, v55
	v_div_scale_f32 v5, vcc, v55, v4, v55
	v_rcp_f32_e32 v7, v1
	v_fma_f32 v8, -v1, v7, 1.0
	v_fmac_f32_e32 v7, v8, v7
	v_mul_f32_e32 v8, v5, v7
	v_fma_f32 v25, -v1, v8, v5
	v_fmac_f32_e32 v8, v25, v7
	v_fma_f32 v1, -v1, v8, v5
	v_div_fmas_f32 v1, v1, v7, v8
	v_div_fixup_f32 v1, v1, v4, v55
	v_cvt_f16_f32_e32 v5, v1
.LBB10_41:
	s_or_b64 exec, exec, s[2:3]
	v_mov_b32_e32 v7, 0
	v_mov_b32_e32 v8, 0
	s_and_saveexec_b64 s[2:3], s[0:1]
	s_cbranch_execz .LBB10_43
; %bb.42:
	v_div_scale_f32 v1, s[4:5], v4, v4, v54
	v_div_scale_f32 v8, vcc, v54, v4, v54
	v_rcp_f32_e32 v25, v1
	v_fma_f32 v27, -v1, v25, 1.0
	v_fmac_f32_e32 v25, v27, v25
	v_mul_f32_e32 v27, v8, v25
	v_fma_f32 v28, -v1, v27, v8
	v_fmac_f32_e32 v27, v28, v25
	v_fma_f32 v1, -v1, v27, v8
	v_div_fmas_f32 v1, v1, v25, v27
	v_div_fixup_f32 v1, v1, v4, v54
	v_cvt_f16_f32_e32 v8, v1
.LBB10_43:
	s_or_b64 exec, exec, s[2:3]
	s_and_saveexec_b64 s[2:3], s[0:1]
	s_cbranch_execz .LBB10_45
; %bb.44:
	v_div_scale_f32 v1, s[4:5], v4, v4, v53
	v_div_scale_f32 v7, vcc, v53, v4, v53
	v_rcp_f32_e32 v25, v1
	v_fma_f32 v27, -v1, v25, 1.0
	v_fmac_f32_e32 v25, v27, v25
	v_mul_f32_e32 v27, v7, v25
	v_fma_f32 v28, -v1, v27, v7
	v_fmac_f32_e32 v27, v28, v25
	v_fma_f32 v1, -v1, v27, v7
	v_div_fmas_f32 v1, v1, v25, v27
	v_div_fixup_f32 v1, v1, v4, v53
	v_cvt_f16_f32_e32 v7, v1
.LBB10_45:
	s_or_b64 exec, exec, s[2:3]
	v_mov_b32_e32 v25, s9
	v_add_co_u32_e32 v1, vcc, s8, v2
	v_addc_co_u32_e32 v2, vcc, v25, v3, vcc
	s_mov_b32 s2, 0x5040100
	v_add_u32_e32 v3, 0x80, v0
	v_perm_b32 v7, v7, v8, s2
	v_perm_b32 v6, v5, v6, s2
	v_cmp_gt_u32_e32 vcc, s14, v3
	global_store_dwordx2 v[1:2], v[6:7], off
	s_and_b64 exec, exec, vcc
	s_cbranch_execz .LBB10_109
; %bb.46:
	v_mov_b32_e32 v3, 0
	v_mov_b32_e32 v5, 0
	s_and_saveexec_b64 s[2:3], s[0:1]
	s_cbranch_execz .LBB10_48
; %bb.47:
	v_div_scale_f32 v5, s[4:5], v4, v4, v52
	v_div_scale_f32 v6, vcc, v52, v4, v52
	v_rcp_f32_e32 v7, v5
	v_fma_f32 v8, -v5, v7, 1.0
	v_fmac_f32_e32 v7, v8, v7
	v_mul_f32_e32 v8, v6, v7
	v_fma_f32 v25, -v5, v8, v6
	v_fmac_f32_e32 v8, v25, v7
	v_fma_f32 v5, -v5, v8, v6
	v_div_fmas_f32 v5, v5, v7, v8
	v_div_fixup_f32 v5, v5, v4, v52
	v_cvt_f16_f32_e32 v5, v5
.LBB10_48:
	s_or_b64 exec, exec, s[2:3]
	s_and_saveexec_b64 s[2:3], s[0:1]
	s_cbranch_execz .LBB10_50
; %bb.49:
	v_div_scale_f32 v3, s[4:5], v4, v4, v51
	v_div_scale_f32 v6, vcc, v51, v4, v51
	v_rcp_f32_e32 v7, v3
	v_fma_f32 v8, -v3, v7, 1.0
	v_fmac_f32_e32 v7, v8, v7
	v_mul_f32_e32 v8, v6, v7
	v_fma_f32 v25, -v3, v8, v6
	v_fmac_f32_e32 v8, v25, v7
	v_fma_f32 v3, -v3, v8, v6
	v_div_fmas_f32 v3, v3, v7, v8
	v_div_fixup_f32 v3, v3, v4, v51
	v_cvt_f16_f32_e32 v3, v3
.LBB10_50:
	s_or_b64 exec, exec, s[2:3]
	v_mov_b32_e32 v6, 0
	v_mov_b32_e32 v7, 0
	s_and_saveexec_b64 s[2:3], s[0:1]
	s_cbranch_execz .LBB10_52
; %bb.51:
	v_div_scale_f32 v7, s[4:5], v4, v4, v50
	v_div_scale_f32 v8, vcc, v50, v4, v50
	v_rcp_f32_e32 v25, v7
	v_fma_f32 v27, -v7, v25, 1.0
	v_fmac_f32_e32 v25, v27, v25
	v_mul_f32_e32 v27, v8, v25
	v_fma_f32 v28, -v7, v27, v8
	v_fmac_f32_e32 v27, v28, v25
	v_fma_f32 v7, -v7, v27, v8
	v_div_fmas_f32 v7, v7, v25, v27
	v_div_fixup_f32 v7, v7, v4, v50
	v_cvt_f16_f32_e32 v7, v7
.LBB10_52:
	s_or_b64 exec, exec, s[2:3]
	s_and_saveexec_b64 s[2:3], s[0:1]
	s_cbranch_execz .LBB10_54
; %bb.53:
	v_div_scale_f32 v6, s[4:5], v4, v4, v49
	v_div_scale_f32 v8, vcc, v49, v4, v49
	v_rcp_f32_e32 v25, v6
	v_fma_f32 v27, -v6, v25, 1.0
	v_fmac_f32_e32 v25, v27, v25
	v_mul_f32_e32 v27, v8, v25
	v_fma_f32 v28, -v6, v27, v8
	v_fmac_f32_e32 v27, v28, v25
	v_fma_f32 v6, -v6, v27, v8
	v_div_fmas_f32 v6, v6, v25, v27
	v_div_fixup_f32 v6, v6, v4, v49
	v_cvt_f16_f32_e32 v6, v6
.LBB10_54:
	s_or_b64 exec, exec, s[2:3]
	s_mov_b32 s2, 0x5040100
	v_perm_b32 v5, v3, v5, s2
	v_add_u32_e32 v3, 0x100, v0
	v_perm_b32 v6, v6, v7, s2
	v_cmp_gt_u32_e32 vcc, s14, v3
	global_store_dwordx2 v[1:2], v[5:6], off offset:256
	s_and_b64 exec, exec, vcc
	s_cbranch_execz .LBB10_109
; %bb.55:
	v_mov_b32_e32 v3, 0
	v_mov_b32_e32 v5, 0
	s_and_saveexec_b64 s[2:3], s[0:1]
	s_cbranch_execz .LBB10_57
; %bb.56:
	v_div_scale_f32 v5, s[4:5], v4, v4, v48
	v_div_scale_f32 v6, vcc, v48, v4, v48
	v_rcp_f32_e32 v7, v5
	v_fma_f32 v8, -v5, v7, 1.0
	v_fmac_f32_e32 v7, v8, v7
	v_mul_f32_e32 v8, v6, v7
	v_fma_f32 v25, -v5, v8, v6
	v_fmac_f32_e32 v8, v25, v7
	v_fma_f32 v5, -v5, v8, v6
	v_div_fmas_f32 v5, v5, v7, v8
	v_div_fixup_f32 v5, v5, v4, v48
	v_cvt_f16_f32_e32 v5, v5
.LBB10_57:
	s_or_b64 exec, exec, s[2:3]
	s_and_saveexec_b64 s[2:3], s[0:1]
	s_cbranch_execz .LBB10_59
; %bb.58:
	v_div_scale_f32 v3, s[4:5], v4, v4, v47
	v_div_scale_f32 v6, vcc, v47, v4, v47
	v_rcp_f32_e32 v7, v3
	v_fma_f32 v8, -v3, v7, 1.0
	v_fmac_f32_e32 v7, v8, v7
	v_mul_f32_e32 v8, v6, v7
	v_fma_f32 v25, -v3, v8, v6
	v_fmac_f32_e32 v8, v25, v7
	v_fma_f32 v3, -v3, v8, v6
	v_div_fmas_f32 v3, v3, v7, v8
	v_div_fixup_f32 v3, v3, v4, v47
	v_cvt_f16_f32_e32 v3, v3
.LBB10_59:
	s_or_b64 exec, exec, s[2:3]
	v_mov_b32_e32 v6, 0
	v_mov_b32_e32 v7, 0
	s_and_saveexec_b64 s[2:3], s[0:1]
	s_cbranch_execz .LBB10_61
; %bb.60:
	v_div_scale_f32 v7, s[4:5], v4, v4, v45
	v_div_scale_f32 v8, vcc, v45, v4, v45
	v_rcp_f32_e32 v25, v7
	v_fma_f32 v27, -v7, v25, 1.0
	v_fmac_f32_e32 v25, v27, v25
	v_mul_f32_e32 v27, v8, v25
	v_fma_f32 v28, -v7, v27, v8
	v_fmac_f32_e32 v27, v28, v25
	v_fma_f32 v7, -v7, v27, v8
	v_div_fmas_f32 v7, v7, v25, v27
	v_div_fixup_f32 v7, v7, v4, v45
	v_cvt_f16_f32_e32 v7, v7
.LBB10_61:
	s_or_b64 exec, exec, s[2:3]
	s_and_saveexec_b64 s[2:3], s[0:1]
	s_cbranch_execz .LBB10_63
; %bb.62:
	v_div_scale_f32 v6, s[4:5], v4, v4, v44
	v_div_scale_f32 v8, vcc, v44, v4, v44
	v_rcp_f32_e32 v25, v6
	v_fma_f32 v27, -v6, v25, 1.0
	v_fmac_f32_e32 v25, v27, v25
	v_mul_f32_e32 v27, v8, v25
	v_fma_f32 v28, -v6, v27, v8
	v_fmac_f32_e32 v27, v28, v25
	v_fma_f32 v6, -v6, v27, v8
	v_div_fmas_f32 v6, v6, v25, v27
	v_div_fixup_f32 v6, v6, v4, v44
	v_cvt_f16_f32_e32 v6, v6
.LBB10_63:
	s_or_b64 exec, exec, s[2:3]
	s_mov_b32 s2, 0x5040100
	v_perm_b32 v5, v3, v5, s2
	v_add_u32_e32 v3, 0x180, v0
	v_perm_b32 v6, v6, v7, s2
	v_cmp_gt_u32_e32 vcc, s14, v3
	global_store_dwordx2 v[1:2], v[5:6], off offset:512
	s_and_b64 exec, exec, vcc
	s_cbranch_execz .LBB10_109
; %bb.64:
	v_mov_b32_e32 v3, 0
	v_mov_b32_e32 v5, 0
	s_and_saveexec_b64 s[2:3], s[0:1]
	s_cbranch_execz .LBB10_66
; %bb.65:
	v_div_scale_f32 v5, s[4:5], v4, v4, v43
	v_div_scale_f32 v6, vcc, v43, v4, v43
	v_rcp_f32_e32 v7, v5
	v_fma_f32 v8, -v5, v7, 1.0
	v_fmac_f32_e32 v7, v8, v7
	v_mul_f32_e32 v8, v6, v7
	v_fma_f32 v25, -v5, v8, v6
	v_fmac_f32_e32 v8, v25, v7
	v_fma_f32 v5, -v5, v8, v6
	v_div_fmas_f32 v5, v5, v7, v8
	v_div_fixup_f32 v5, v5, v4, v43
	v_cvt_f16_f32_e32 v5, v5
.LBB10_66:
	s_or_b64 exec, exec, s[2:3]
	s_and_saveexec_b64 s[2:3], s[0:1]
	s_cbranch_execz .LBB10_68
; %bb.67:
	v_div_scale_f32 v3, s[4:5], v4, v4, v42
	v_div_scale_f32 v6, vcc, v42, v4, v42
	v_rcp_f32_e32 v7, v3
	v_fma_f32 v8, -v3, v7, 1.0
	v_fmac_f32_e32 v7, v8, v7
	v_mul_f32_e32 v8, v6, v7
	v_fma_f32 v25, -v3, v8, v6
	v_fmac_f32_e32 v8, v25, v7
	v_fma_f32 v3, -v3, v8, v6
	v_div_fmas_f32 v3, v3, v7, v8
	v_div_fixup_f32 v3, v3, v4, v42
	v_cvt_f16_f32_e32 v3, v3
.LBB10_68:
	s_or_b64 exec, exec, s[2:3]
	v_mov_b32_e32 v6, 0
	v_mov_b32_e32 v7, 0
	s_and_saveexec_b64 s[2:3], s[0:1]
	s_cbranch_execz .LBB10_70
; %bb.69:
	v_div_scale_f32 v7, s[4:5], v4, v4, v41
	v_div_scale_f32 v8, vcc, v41, v4, v41
	v_rcp_f32_e32 v25, v7
	v_fma_f32 v27, -v7, v25, 1.0
	v_fmac_f32_e32 v25, v27, v25
	v_mul_f32_e32 v27, v8, v25
	v_fma_f32 v28, -v7, v27, v8
	v_fmac_f32_e32 v27, v28, v25
	v_fma_f32 v7, -v7, v27, v8
	v_div_fmas_f32 v7, v7, v25, v27
	v_div_fixup_f32 v7, v7, v4, v41
	v_cvt_f16_f32_e32 v7, v7
.LBB10_70:
	s_or_b64 exec, exec, s[2:3]
	s_and_saveexec_b64 s[2:3], s[0:1]
	s_cbranch_execz .LBB10_72
; %bb.71:
	v_div_scale_f32 v6, s[4:5], v4, v4, v26
	v_div_scale_f32 v8, vcc, v26, v4, v26
	v_rcp_f32_e32 v25, v6
	v_fma_f32 v27, -v6, v25, 1.0
	v_fmac_f32_e32 v25, v27, v25
	v_mul_f32_e32 v27, v8, v25
	v_fma_f32 v28, -v6, v27, v8
	v_fmac_f32_e32 v27, v28, v25
	v_fma_f32 v6, -v6, v27, v8
	v_div_fmas_f32 v6, v6, v25, v27
	v_div_fixup_f32 v6, v6, v4, v26
	v_cvt_f16_f32_e32 v6, v6
.LBB10_72:
	s_or_b64 exec, exec, s[2:3]
	s_mov_b32 s2, 0x5040100
	v_perm_b32 v5, v3, v5, s2
	v_add_u32_e32 v3, 0x200, v0
	v_perm_b32 v6, v6, v7, s2
	v_cmp_gt_u32_e32 vcc, s14, v3
	global_store_dwordx2 v[1:2], v[5:6], off offset:768
	s_and_b64 exec, exec, vcc
	s_cbranch_execz .LBB10_109
; %bb.73:
	v_mov_b32_e32 v3, 0
	v_mov_b32_e32 v5, 0
	s_and_saveexec_b64 s[2:3], s[0:1]
	s_cbranch_execz .LBB10_75
; %bb.74:
	v_div_scale_f32 v5, s[4:5], v4, v4, v24
	v_div_scale_f32 v6, vcc, v24, v4, v24
	v_rcp_f32_e32 v7, v5
	v_fma_f32 v8, -v5, v7, 1.0
	v_fmac_f32_e32 v7, v8, v7
	v_mul_f32_e32 v8, v6, v7
	v_fma_f32 v25, -v5, v8, v6
	v_fmac_f32_e32 v8, v25, v7
	v_fma_f32 v5, -v5, v8, v6
	v_div_fmas_f32 v5, v5, v7, v8
	v_div_fixup_f32 v5, v5, v4, v24
	v_cvt_f16_f32_e32 v5, v5
.LBB10_75:
	s_or_b64 exec, exec, s[2:3]
	s_and_saveexec_b64 s[2:3], s[0:1]
	s_cbranch_execz .LBB10_77
; %bb.76:
	v_div_scale_f32 v3, s[4:5], v4, v4, v23
	v_div_scale_f32 v6, vcc, v23, v4, v23
	v_rcp_f32_e32 v7, v3
	v_fma_f32 v8, -v3, v7, 1.0
	v_fmac_f32_e32 v7, v8, v7
	v_mul_f32_e32 v8, v6, v7
	v_fma_f32 v24, -v3, v8, v6
	v_fmac_f32_e32 v8, v24, v7
	v_fma_f32 v3, -v3, v8, v6
	v_div_fmas_f32 v3, v3, v7, v8
	v_div_fixup_f32 v3, v3, v4, v23
	v_cvt_f16_f32_e32 v3, v3
.LBB10_77:
	s_or_b64 exec, exec, s[2:3]
	v_mov_b32_e32 v6, 0
	v_mov_b32_e32 v7, 0
	s_and_saveexec_b64 s[2:3], s[0:1]
	s_cbranch_execz .LBB10_79
; %bb.78:
	v_div_scale_f32 v7, s[4:5], v4, v4, v22
	v_div_scale_f32 v8, vcc, v22, v4, v22
	v_rcp_f32_e32 v23, v7
	v_fma_f32 v24, -v7, v23, 1.0
	v_fmac_f32_e32 v23, v24, v23
	v_mul_f32_e32 v24, v8, v23
	v_fma_f32 v25, -v7, v24, v8
	v_fmac_f32_e32 v24, v25, v23
	v_fma_f32 v7, -v7, v24, v8
	v_div_fmas_f32 v7, v7, v23, v24
	v_div_fixup_f32 v7, v7, v4, v22
	v_cvt_f16_f32_e32 v7, v7
.LBB10_79:
	s_or_b64 exec, exec, s[2:3]
	s_and_saveexec_b64 s[2:3], s[0:1]
	s_cbranch_execz .LBB10_81
; %bb.80:
	v_div_scale_f32 v6, s[4:5], v4, v4, v21
	v_div_scale_f32 v8, vcc, v21, v4, v21
	v_rcp_f32_e32 v22, v6
	v_fma_f32 v23, -v6, v22, 1.0
	v_fmac_f32_e32 v22, v23, v22
	v_mul_f32_e32 v23, v8, v22
	v_fma_f32 v24, -v6, v23, v8
	v_fmac_f32_e32 v23, v24, v22
	v_fma_f32 v6, -v6, v23, v8
	v_div_fmas_f32 v6, v6, v22, v23
	v_div_fixup_f32 v6, v6, v4, v21
	v_cvt_f16_f32_e32 v6, v6
.LBB10_81:
	s_or_b64 exec, exec, s[2:3]
	s_mov_b32 s2, 0x5040100
	v_perm_b32 v5, v3, v5, s2
	v_add_u32_e32 v3, 0x280, v0
	v_perm_b32 v6, v6, v7, s2
	v_cmp_gt_u32_e32 vcc, s14, v3
	global_store_dwordx2 v[1:2], v[5:6], off offset:1024
	s_and_b64 exec, exec, vcc
	s_cbranch_execz .LBB10_109
; %bb.82:
	v_mov_b32_e32 v3, 0
	v_mov_b32_e32 v5, 0
	s_and_saveexec_b64 s[2:3], s[0:1]
	s_cbranch_execz .LBB10_84
; %bb.83:
	v_div_scale_f32 v5, s[4:5], v4, v4, v20
	v_div_scale_f32 v6, vcc, v20, v4, v20
	v_rcp_f32_e32 v7, v5
	v_fma_f32 v8, -v5, v7, 1.0
	v_fmac_f32_e32 v7, v8, v7
	v_mul_f32_e32 v8, v6, v7
	v_fma_f32 v21, -v5, v8, v6
	v_fmac_f32_e32 v8, v21, v7
	v_fma_f32 v5, -v5, v8, v6
	v_div_fmas_f32 v5, v5, v7, v8
	v_div_fixup_f32 v5, v5, v4, v20
	v_cvt_f16_f32_e32 v5, v5
.LBB10_84:
	s_or_b64 exec, exec, s[2:3]
	s_and_saveexec_b64 s[2:3], s[0:1]
	s_cbranch_execz .LBB10_86
; %bb.85:
	v_div_scale_f32 v3, s[4:5], v4, v4, v19
	v_div_scale_f32 v6, vcc, v19, v4, v19
	v_rcp_f32_e32 v7, v3
	v_fma_f32 v8, -v3, v7, 1.0
	v_fmac_f32_e32 v7, v8, v7
	v_mul_f32_e32 v8, v6, v7
	v_fma_f32 v20, -v3, v8, v6
	v_fmac_f32_e32 v8, v20, v7
	v_fma_f32 v3, -v3, v8, v6
	v_div_fmas_f32 v3, v3, v7, v8
	v_div_fixup_f32 v3, v3, v4, v19
	v_cvt_f16_f32_e32 v3, v3
.LBB10_86:
	s_or_b64 exec, exec, s[2:3]
	v_mov_b32_e32 v6, 0
	v_mov_b32_e32 v7, 0
	s_and_saveexec_b64 s[2:3], s[0:1]
	s_cbranch_execz .LBB10_88
; %bb.87:
	v_div_scale_f32 v7, s[4:5], v4, v4, v18
	v_div_scale_f32 v8, vcc, v18, v4, v18
	v_rcp_f32_e32 v19, v7
	v_fma_f32 v20, -v7, v19, 1.0
	v_fmac_f32_e32 v19, v20, v19
	v_mul_f32_e32 v20, v8, v19
	v_fma_f32 v21, -v7, v20, v8
	v_fmac_f32_e32 v20, v21, v19
	v_fma_f32 v7, -v7, v20, v8
	v_div_fmas_f32 v7, v7, v19, v20
	v_div_fixup_f32 v7, v7, v4, v18
	v_cvt_f16_f32_e32 v7, v7
.LBB10_88:
	s_or_b64 exec, exec, s[2:3]
	s_and_saveexec_b64 s[2:3], s[0:1]
	s_cbranch_execz .LBB10_90
; %bb.89:
	v_div_scale_f32 v6, s[4:5], v4, v4, v17
	v_div_scale_f32 v8, vcc, v17, v4, v17
	v_rcp_f32_e32 v18, v6
	v_fma_f32 v19, -v6, v18, 1.0
	v_fmac_f32_e32 v18, v19, v18
	v_mul_f32_e32 v19, v8, v18
	v_fma_f32 v20, -v6, v19, v8
	v_fmac_f32_e32 v19, v20, v18
	v_fma_f32 v6, -v6, v19, v8
	v_div_fmas_f32 v6, v6, v18, v19
	v_div_fixup_f32 v6, v6, v4, v17
	v_cvt_f16_f32_e32 v6, v6
.LBB10_90:
	s_or_b64 exec, exec, s[2:3]
	s_mov_b32 s2, 0x5040100
	v_perm_b32 v5, v3, v5, s2
	v_add_u32_e32 v3, 0x300, v0
	v_perm_b32 v6, v6, v7, s2
	v_cmp_gt_u32_e32 vcc, s14, v3
	global_store_dwordx2 v[1:2], v[5:6], off offset:1280
	s_and_b64 exec, exec, vcc
	s_cbranch_execz .LBB10_109
; %bb.91:
	v_mov_b32_e32 v3, 0
	v_mov_b32_e32 v5, 0
	s_and_saveexec_b64 s[2:3], s[0:1]
	s_cbranch_execz .LBB10_93
; %bb.92:
	v_div_scale_f32 v5, s[4:5], v4, v4, v16
	v_div_scale_f32 v6, vcc, v16, v4, v16
	v_rcp_f32_e32 v7, v5
	v_fma_f32 v8, -v5, v7, 1.0
	v_fmac_f32_e32 v7, v8, v7
	v_mul_f32_e32 v8, v6, v7
	v_fma_f32 v17, -v5, v8, v6
	v_fmac_f32_e32 v8, v17, v7
	v_fma_f32 v5, -v5, v8, v6
	v_div_fmas_f32 v5, v5, v7, v8
	v_div_fixup_f32 v5, v5, v4, v16
	v_cvt_f16_f32_e32 v5, v5
.LBB10_93:
	s_or_b64 exec, exec, s[2:3]
	s_and_saveexec_b64 s[2:3], s[0:1]
	s_cbranch_execz .LBB10_95
; %bb.94:
	v_div_scale_f32 v3, s[4:5], v4, v4, v15
	v_div_scale_f32 v6, vcc, v15, v4, v15
	v_rcp_f32_e32 v7, v3
	v_fma_f32 v8, -v3, v7, 1.0
	v_fmac_f32_e32 v7, v8, v7
	v_mul_f32_e32 v8, v6, v7
	v_fma_f32 v16, -v3, v8, v6
	v_fmac_f32_e32 v8, v16, v7
	v_fma_f32 v3, -v3, v8, v6
	v_div_fmas_f32 v3, v3, v7, v8
	v_div_fixup_f32 v3, v3, v4, v15
	v_cvt_f16_f32_e32 v3, v3
.LBB10_95:
	s_or_b64 exec, exec, s[2:3]
	v_mov_b32_e32 v6, 0
	v_mov_b32_e32 v7, 0
	s_and_saveexec_b64 s[2:3], s[0:1]
	s_cbranch_execz .LBB10_97
; %bb.96:
	v_div_scale_f32 v7, s[4:5], v4, v4, v14
	v_div_scale_f32 v8, vcc, v14, v4, v14
	v_rcp_f32_e32 v15, v7
	v_fma_f32 v16, -v7, v15, 1.0
	v_fmac_f32_e32 v15, v16, v15
	v_mul_f32_e32 v16, v8, v15
	v_fma_f32 v17, -v7, v16, v8
	v_fmac_f32_e32 v16, v17, v15
	v_fma_f32 v7, -v7, v16, v8
	v_div_fmas_f32 v7, v7, v15, v16
	v_div_fixup_f32 v7, v7, v4, v14
	v_cvt_f16_f32_e32 v7, v7
.LBB10_97:
	s_or_b64 exec, exec, s[2:3]
	s_and_saveexec_b64 s[2:3], s[0:1]
	s_cbranch_execz .LBB10_99
; %bb.98:
	v_div_scale_f32 v6, s[4:5], v4, v4, v13
	v_div_scale_f32 v8, vcc, v13, v4, v13
	v_rcp_f32_e32 v14, v6
	v_fma_f32 v15, -v6, v14, 1.0
	v_fmac_f32_e32 v14, v15, v14
	v_mul_f32_e32 v15, v8, v14
	v_fma_f32 v16, -v6, v15, v8
	v_fmac_f32_e32 v15, v16, v14
	v_fma_f32 v6, -v6, v15, v8
	v_div_fmas_f32 v6, v6, v14, v15
	v_div_fixup_f32 v6, v6, v4, v13
	v_cvt_f16_f32_e32 v6, v6
.LBB10_99:
	s_or_b64 exec, exec, s[2:3]
	s_mov_b32 s2, 0x5040100
	v_add_u32_e32 v0, 0x380, v0
	v_perm_b32 v6, v6, v7, s2
	v_perm_b32 v5, v3, v5, s2
	v_cmp_gt_u32_e32 vcc, s14, v0
	global_store_dwordx2 v[1:2], v[5:6], off offset:1536
	s_and_b64 exec, exec, vcc
	s_cbranch_execz .LBB10_109
; %bb.100:
	v_mov_b32_e32 v0, 0
	v_mov_b32_e32 v3, 0
	s_and_saveexec_b64 s[2:3], s[0:1]
	s_cbranch_execz .LBB10_102
; %bb.101:
	v_div_scale_f32 v3, s[4:5], v4, v4, v12
	v_div_scale_f32 v5, vcc, v12, v4, v12
	v_rcp_f32_e32 v6, v3
	v_fma_f32 v7, -v3, v6, 1.0
	v_fmac_f32_e32 v6, v7, v6
	v_mul_f32_e32 v7, v5, v6
	v_fma_f32 v8, -v3, v7, v5
	v_fmac_f32_e32 v7, v8, v6
	v_fma_f32 v3, -v3, v7, v5
	v_div_fmas_f32 v3, v3, v6, v7
	v_div_fixup_f32 v3, v3, v4, v12
	v_cvt_f16_f32_e32 v3, v3
.LBB10_102:
	s_or_b64 exec, exec, s[2:3]
	s_and_saveexec_b64 s[2:3], s[0:1]
	s_cbranch_execz .LBB10_104
; %bb.103:
	v_div_scale_f32 v0, s[4:5], v4, v4, v11
	v_div_scale_f32 v5, vcc, v11, v4, v11
	v_rcp_f32_e32 v6, v0
	v_fma_f32 v7, -v0, v6, 1.0
	v_fmac_f32_e32 v6, v7, v6
	v_mul_f32_e32 v7, v5, v6
	v_fma_f32 v8, -v0, v7, v5
	v_fmac_f32_e32 v7, v8, v6
	v_fma_f32 v0, -v0, v7, v5
	v_div_fmas_f32 v0, v0, v6, v7
	v_div_fixup_f32 v0, v0, v4, v11
	v_cvt_f16_f32_e32 v0, v0
.LBB10_104:
	s_or_b64 exec, exec, s[2:3]
	v_mov_b32_e32 v5, 0
	v_mov_b32_e32 v6, 0
	s_and_saveexec_b64 s[2:3], s[0:1]
	s_cbranch_execz .LBB10_106
; %bb.105:
	v_div_scale_f32 v6, s[4:5], v4, v4, v10
	v_div_scale_f32 v7, vcc, v10, v4, v10
	v_rcp_f32_e32 v8, v6
	v_fma_f32 v11, -v6, v8, 1.0
	v_fmac_f32_e32 v8, v11, v8
	v_mul_f32_e32 v11, v7, v8
	v_fma_f32 v12, -v6, v11, v7
	v_fmac_f32_e32 v11, v12, v8
	v_fma_f32 v6, -v6, v11, v7
	v_div_fmas_f32 v6, v6, v8, v11
	v_div_fixup_f32 v6, v6, v4, v10
	v_cvt_f16_f32_e32 v6, v6
.LBB10_106:
	s_or_b64 exec, exec, s[2:3]
	s_and_saveexec_b64 s[2:3], s[0:1]
	s_cbranch_execz .LBB10_108
; %bb.107:
	v_div_scale_f32 v5, s[0:1], v4, v4, v9
	v_div_scale_f32 v7, vcc, v9, v4, v9
	v_rcp_f32_e32 v8, v5
	v_fma_f32 v10, -v5, v8, 1.0
	v_fmac_f32_e32 v8, v10, v8
	v_mul_f32_e32 v10, v7, v8
	v_fma_f32 v11, -v5, v10, v7
	v_fmac_f32_e32 v10, v11, v8
	v_fma_f32 v5, -v5, v10, v7
	v_div_fmas_f32 v5, v5, v8, v10
	v_div_fixup_f32 v4, v5, v4, v9
	v_cvt_f16_f32_e32 v5, v4
.LBB10_108:
	s_or_b64 exec, exec, s[2:3]
	s_mov_b32 s0, 0x5040100
	v_perm_b32 v4, v5, v6, s0
	v_perm_b32 v3, v0, v3, s0
	global_store_dwordx2 v[1:2], v[3:4], off offset:1792
.LBB10_109:
	s_endpgm
	.section	.rodata,"a",@progbits
	.p2align	6, 0x0
	.amdhsa_kernel _Z34scaled_masked_softmax_warp_forwardI6__halfS0_fLi10EEvPT0_PKT_PKhT1_iii
		.amdhsa_group_segment_fixed_size 0
		.amdhsa_private_segment_fixed_size 0
		.amdhsa_kernarg_size 296
		.amdhsa_user_sgpr_count 6
		.amdhsa_user_sgpr_private_segment_buffer 1
		.amdhsa_user_sgpr_dispatch_ptr 0
		.amdhsa_user_sgpr_queue_ptr 0
		.amdhsa_user_sgpr_kernarg_segment_ptr 1
		.amdhsa_user_sgpr_dispatch_id 0
		.amdhsa_user_sgpr_flat_scratch_init 0
		.amdhsa_user_sgpr_private_segment_size 0
		.amdhsa_uses_dynamic_stack 0
		.amdhsa_system_sgpr_private_segment_wavefront_offset 0
		.amdhsa_system_sgpr_workgroup_id_x 1
		.amdhsa_system_sgpr_workgroup_id_y 1
		.amdhsa_system_sgpr_workgroup_id_z 1
		.amdhsa_system_sgpr_workgroup_info 0
		.amdhsa_system_vgpr_workitem_id 1
		.amdhsa_next_free_vgpr 58
		.amdhsa_next_free_sgpr 96
		.amdhsa_reserve_vcc 1
		.amdhsa_reserve_flat_scratch 0
		.amdhsa_float_round_mode_32 0
		.amdhsa_float_round_mode_16_64 0
		.amdhsa_float_denorm_mode_32 3
		.amdhsa_float_denorm_mode_16_64 3
		.amdhsa_dx10_clamp 1
		.amdhsa_ieee_mode 1
		.amdhsa_fp16_overflow 0
		.amdhsa_exception_fp_ieee_invalid_op 0
		.amdhsa_exception_fp_denorm_src 0
		.amdhsa_exception_fp_ieee_div_zero 0
		.amdhsa_exception_fp_ieee_overflow 0
		.amdhsa_exception_fp_ieee_underflow 0
		.amdhsa_exception_fp_ieee_inexact 0
		.amdhsa_exception_int_div_zero 0
	.end_amdhsa_kernel
	.section	.text._Z34scaled_masked_softmax_warp_forwardI6__halfS0_fLi10EEvPT0_PKT_PKhT1_iii,"axG",@progbits,_Z34scaled_masked_softmax_warp_forwardI6__halfS0_fLi10EEvPT0_PKT_PKhT1_iii,comdat
.Lfunc_end10:
	.size	_Z34scaled_masked_softmax_warp_forwardI6__halfS0_fLi10EEvPT0_PKT_PKhT1_iii, .Lfunc_end10-_Z34scaled_masked_softmax_warp_forwardI6__halfS0_fLi10EEvPT0_PKT_PKhT1_iii
                                        ; -- End function
	.set _Z34scaled_masked_softmax_warp_forwardI6__halfS0_fLi10EEvPT0_PKT_PKhT1_iii.num_vgpr, 58
	.set _Z34scaled_masked_softmax_warp_forwardI6__halfS0_fLi10EEvPT0_PKT_PKhT1_iii.num_agpr, 0
	.set _Z34scaled_masked_softmax_warp_forwardI6__halfS0_fLi10EEvPT0_PKT_PKhT1_iii.numbered_sgpr, 96
	.set _Z34scaled_masked_softmax_warp_forwardI6__halfS0_fLi10EEvPT0_PKT_PKhT1_iii.num_named_barrier, 0
	.set _Z34scaled_masked_softmax_warp_forwardI6__halfS0_fLi10EEvPT0_PKT_PKhT1_iii.private_seg_size, 0
	.set _Z34scaled_masked_softmax_warp_forwardI6__halfS0_fLi10EEvPT0_PKT_PKhT1_iii.uses_vcc, 1
	.set _Z34scaled_masked_softmax_warp_forwardI6__halfS0_fLi10EEvPT0_PKT_PKhT1_iii.uses_flat_scratch, 0
	.set _Z34scaled_masked_softmax_warp_forwardI6__halfS0_fLi10EEvPT0_PKT_PKhT1_iii.has_dyn_sized_stack, 0
	.set _Z34scaled_masked_softmax_warp_forwardI6__halfS0_fLi10EEvPT0_PKT_PKhT1_iii.has_recursion, 0
	.set _Z34scaled_masked_softmax_warp_forwardI6__halfS0_fLi10EEvPT0_PKT_PKhT1_iii.has_indirect_call, 0
	.section	.AMDGPU.csdata,"",@progbits
; Kernel info:
; codeLenInByte = 9580
; TotalNumSgprs: 100
; NumVgprs: 58
; ScratchSize: 0
; MemoryBound: 0
; FloatMode: 240
; IeeeMode: 1
; LDSByteSize: 0 bytes/workgroup (compile time only)
; SGPRBlocks: 12
; VGPRBlocks: 14
; NumSGPRsForWavesPerEU: 100
; NumVGPRsForWavesPerEU: 58
; Occupancy: 4
; WaveLimiterHint : 0
; COMPUTE_PGM_RSRC2:SCRATCH_EN: 0
; COMPUTE_PGM_RSRC2:USER_SGPR: 6
; COMPUTE_PGM_RSRC2:TRAP_HANDLER: 0
; COMPUTE_PGM_RSRC2:TGID_X_EN: 1
; COMPUTE_PGM_RSRC2:TGID_Y_EN: 1
; COMPUTE_PGM_RSRC2:TGID_Z_EN: 1
; COMPUTE_PGM_RSRC2:TIDIG_COMP_CNT: 1
	.section	.text._Z34scaled_masked_softmax_warp_forwardI14__hip_bfloat16S0_fLi0EEvPT0_PKT_PKhT1_iii,"axG",@progbits,_Z34scaled_masked_softmax_warp_forwardI14__hip_bfloat16S0_fLi0EEvPT0_PKT_PKhT1_iii,comdat
	.protected	_Z34scaled_masked_softmax_warp_forwardI14__hip_bfloat16S0_fLi0EEvPT0_PKT_PKhT1_iii ; -- Begin function _Z34scaled_masked_softmax_warp_forwardI14__hip_bfloat16S0_fLi0EEvPT0_PKT_PKhT1_iii
	.globl	_Z34scaled_masked_softmax_warp_forwardI14__hip_bfloat16S0_fLi0EEvPT0_PKT_PKhT1_iii
	.p2align	8
	.type	_Z34scaled_masked_softmax_warp_forwardI14__hip_bfloat16S0_fLi0EEvPT0_PKT_PKhT1_iii,@function
_Z34scaled_masked_softmax_warp_forwardI14__hip_bfloat16S0_fLi0EEvPT0_PKT_PKhT1_iii: ; @_Z34scaled_masked_softmax_warp_forwardI14__hip_bfloat16S0_fLi0EEvPT0_PKT_PKhT1_iii
; %bb.0:
	s_load_dword s2, s[4:5], 0x34
	s_load_dwordx4 s[12:15], s[4:5], 0x18
	s_load_dwordx2 s[0:1], s[4:5], 0x28
	s_waitcnt lgkmcnt(0)
	s_lshr_b32 s3, s2, 16
	s_cmp_eq_u32 s15, 1
	s_mov_b32 s2, s6
	s_cbranch_scc1 .LBB11_2
; %bb.1:
	s_mul_i32 s2, s0, s8
	s_add_i32 s2, s2, s6
.LBB11_2:
	s_mul_i32 s1, s1, s8
	s_add_i32 s1, s1, s7
	s_mul_i32 s0, s0, s1
	s_and_b32 s3, 0xffff, s3
	s_add_i32 s0, s0, s6
	s_mul_i32 s0, s0, s3
	v_add_lshl_u32 v2, s0, v1, 1
	v_sub_u32_e32 v9, s13, v2
	v_cmp_lt_i32_e32 vcc, 0, v9
	s_and_saveexec_b64 s[0:1], vcc
	s_cbranch_execz .LBB11_15
; %bb.3:
	v_mad_u64_u32 v[2:3], s[0:1], v2, s14, v[0:1]
	s_mul_i32 s2, s2, s3
	s_load_dwordx4 s[8:11], s[4:5], 0x0
	s_load_dwordx2 s[0:1], s[4:5], 0x10
	v_add_u32_e32 v4, s2, v1
	v_ashrrev_i32_e32 v3, 31, v2
	v_mul_lo_u32 v4, s14, v4
	v_lshlrev_b64 v[1:2], 1, v[2:3]
	s_waitcnt lgkmcnt(0)
	v_mov_b32_e32 v3, s11
	v_add_co_u32_e32 v5, vcc, s10, v1
	v_addc_co_u32_e32 v6, vcc, v3, v2, vcc
	v_lshl_add_u32 v3, v4, 1, v0
	v_ashrrev_i32_e32 v4, 31, v3
	v_mov_b32_e32 v7, s1
	v_add_co_u32_e32 v3, vcc, s0, v3
	v_addc_co_u32_e32 v4, vcc, v7, v4, vcc
	v_cmp_le_i32_e32 vcc, s14, v0
	v_cmp_gt_i32_e64 s[0:1], s14, v0
	v_mov_b32_e32 v8, 0xff800000
	v_mov_b32_e32 v7, 0
	s_and_saveexec_b64 s[2:3], s[0:1]
	s_cbranch_execz .LBB11_5
; %bb.4:
	global_load_ushort v8, v[5:6], off
	global_load_ubyte v10, v[3:4], off
	v_mov_b32_e32 v11, 0xc61c4000
	s_waitcnt vmcnt(1)
	v_lshlrev_b32_e32 v8, 16, v8
	v_mul_f32_e32 v8, s12, v8
	s_waitcnt vmcnt(0)
	v_cmp_ne_u16_e64 s[0:1], 1, v10
	v_cndmask_b32_e64 v8, v11, v8, s[0:1]
.LBB11_5:
	s_or_b64 exec, exec, s[2:3]
	v_cmp_eq_u32_e64 s[0:1], 1, v9
	v_cmp_ne_u32_e64 s[2:3], 1, v9
	s_and_saveexec_b64 s[4:5], s[2:3]
	s_xor_b64 s[2:3], exec, s[4:5]
	s_cbranch_execz .LBB11_11
; %bb.6:
	s_and_saveexec_b64 s[4:5], vcc
	s_xor_b64 s[4:5], exec, s[4:5]
                                        ; implicit-def: $vgpr7
; %bb.7:
	v_mov_b32_e32 v7, 0xff800000
                                        ; implicit-def: $vgpr3
                                        ; implicit-def: $vgpr5
; %bb.8:
	s_andn2_saveexec_b64 s[4:5], s[4:5]
	s_cbranch_execz .LBB11_10
; %bb.9:
	s_mov_b32 s15, 0
	s_lshl_b64 s[6:7], s[14:15], 1
	v_mov_b32_e32 v7, s7
	v_add_co_u32_e32 v5, vcc, s6, v5
	v_addc_co_u32_e32 v6, vcc, v6, v7, vcc
	v_add_co_u32_e32 v3, vcc, s14, v3
	global_load_ushort v5, v[5:6], off
	v_addc_co_u32_e32 v4, vcc, 0, v4, vcc
	global_load_ubyte v3, v[3:4], off
	v_mov_b32_e32 v4, 0xc61c4000
	s_waitcnt vmcnt(1)
	v_lshlrev_b32_e32 v5, 16, v5
	v_mul_f32_e32 v5, s12, v5
	s_waitcnt vmcnt(0)
	v_cmp_eq_u16_e32 vcc, 1, v3
	v_cndmask_b32_e32 v7, v5, v4, vcc
.LBB11_10:
	s_or_b64 exec, exec, s[4:5]
.LBB11_11:
	s_or_b64 exec, exec, s[2:3]
	v_mov_b32_e32 v3, s9
	v_add_co_u32_e32 v1, vcc, s8, v1
	v_addc_co_u32_e32 v2, vcc, v3, v2, vcc
	v_cmp_le_i32_e64 s[2:3], s14, v0
	v_cmp_gt_i32_e32 vcc, s14, v0
	s_and_saveexec_b64 s[6:7], vcc
	s_cbranch_execz .LBB11_13
; %bb.12:
	v_sub_f32_e32 v0, v8, v8
	v_mul_f32_e32 v3, 0x3fb8aa3b, v0
	s_mov_b32 s4, 0x3fb8aa3b
	v_rndne_f32_e32 v4, v3
	v_sub_f32_e32 v5, v3, v4
	v_fma_f32 v3, v0, s4, -v3
	v_fmac_f32_e32 v3, 0x32a5705f, v0
	v_add_f32_e32 v3, v5, v3
	v_exp_f32_e32 v3, v3
	v_cvt_i32_f32_e32 v4, v4
	s_mov_b32 s4, 0xc2ce8ed0
	v_cmp_ngt_f32_e32 vcc, s4, v0
	s_mov_b32 s4, 0x42b17218
	v_ldexp_f32 v3, v3, v4
	v_cndmask_b32_e32 v3, 0, v3, vcc
	v_mov_b32_e32 v4, 0x7f800000
	v_cmp_nlt_f32_e32 vcc, s4, v0
	v_cndmask_b32_e32 v0, v4, v3, vcc
	v_div_scale_f32 v3, vcc, v0, v0, v0
	s_mov_b32 s4, 0xc61c4000
	s_movk_i32 s5, 0x7fff
	v_rcp_f32_e32 v4, v3
	v_fma_f32 v5, -v3, v4, 1.0
	v_fmac_f32_e32 v4, v5, v4
	v_mul_f32_e32 v5, v3, v4
	v_fma_f32 v6, -v3, v5, v3
	v_fmac_f32_e32 v5, v6, v4
	v_fma_f32 v3, -v3, v5, v3
	v_div_fmas_f32 v3, v3, v4, v5
	v_cmp_neq_f32_e32 vcc, s4, v8
	v_mov_b32_e32 v4, 0
	v_div_fixup_f32 v0, v3, v0, v0
	v_bfe_u32 v3, v0, 16, 1
	v_or_b32_e32 v5, 0x400000, v0
	v_add3_u32 v3, v3, v0, s5
	v_cmp_u_f32_e64 s[4:5], v0, v0
	v_cndmask_b32_e64 v0, v3, v5, s[4:5]
	v_cndmask_b32_sdwa v0, v4, v0, vcc dst_sel:DWORD dst_unused:UNUSED_PAD src0_sel:DWORD src1_sel:WORD_1
	global_store_short v[1:2], v0, off
.LBB11_13:
	s_or_b64 exec, exec, s[6:7]
	s_nor_b64 s[0:1], s[0:1], s[2:3]
	s_and_saveexec_b64 s[2:3], s[0:1]
	s_xor_b64 s[2:3], exec, s[2:3]
	s_cbranch_execz .LBB11_15
; %bb.14:
	v_sub_f32_e32 v0, v7, v7
	v_mul_f32_e32 v3, 0x3fb8aa3b, v0
	s_mov_b32 s0, 0x3fb8aa3b
	v_rndne_f32_e32 v4, v3
	v_sub_f32_e32 v5, v3, v4
	v_fma_f32 v3, v0, s0, -v3
	v_fmac_f32_e32 v3, 0x32a5705f, v0
	v_add_f32_e32 v3, v5, v3
	v_exp_f32_e32 v3, v3
	v_cvt_i32_f32_e32 v4, v4
	s_mov_b32 s0, 0xc2ce8ed0
	v_cmp_ngt_f32_e32 vcc, s0, v0
	s_mov_b32 s0, 0x42b17218
	v_ldexp_f32 v3, v3, v4
	v_cndmask_b32_e32 v3, 0, v3, vcc
	v_mov_b32_e32 v4, 0x7f800000
	v_cmp_nlt_f32_e32 vcc, s0, v0
	v_cndmask_b32_e32 v3, v4, v3, vcc
	v_div_scale_f32 v0, vcc, v3, v3, v3
	s_mov_b32 s0, 0xc61c4000
	s_mov_b32 s15, 0
	s_movk_i32 s2, 0x7fff
	v_rcp_f32_e32 v4, v0
	v_fma_f32 v5, -v0, v4, 1.0
	v_fmac_f32_e32 v4, v5, v4
	v_mul_f32_e32 v5, v0, v4
	v_fma_f32 v6, -v0, v5, v0
	v_fmac_f32_e32 v5, v6, v4
	v_fma_f32 v0, -v0, v5, v0
	v_div_fmas_f32 v4, v0, v4, v5
	v_cmp_neq_f32_e32 vcc, s0, v7
	s_lshl_b64 s[0:1], s[14:15], 1
	v_mov_b32_e32 v6, s1
	v_add_co_u32_e64 v0, s[0:1], s0, v1
	v_addc_co_u32_e64 v1, s[0:1], v2, v6, s[0:1]
	v_mov_b32_e32 v5, 0
	v_div_fixup_f32 v2, v4, v3, v3
	v_bfe_u32 v3, v2, 16, 1
	v_or_b32_e32 v4, 0x400000, v2
	v_add3_u32 v3, v3, v2, s2
	v_cmp_u_f32_e64 s[0:1], v2, v2
	v_cndmask_b32_e64 v2, v3, v4, s[0:1]
	v_cndmask_b32_sdwa v2, v5, v2, vcc dst_sel:DWORD dst_unused:UNUSED_PAD src0_sel:DWORD src1_sel:WORD_1
	global_store_short v[0:1], v2, off
.LBB11_15:
	s_endpgm
	.section	.rodata,"a",@progbits
	.p2align	6, 0x0
	.amdhsa_kernel _Z34scaled_masked_softmax_warp_forwardI14__hip_bfloat16S0_fLi0EEvPT0_PKT_PKhT1_iii
		.amdhsa_group_segment_fixed_size 0
		.amdhsa_private_segment_fixed_size 0
		.amdhsa_kernarg_size 296
		.amdhsa_user_sgpr_count 6
		.amdhsa_user_sgpr_private_segment_buffer 1
		.amdhsa_user_sgpr_dispatch_ptr 0
		.amdhsa_user_sgpr_queue_ptr 0
		.amdhsa_user_sgpr_kernarg_segment_ptr 1
		.amdhsa_user_sgpr_dispatch_id 0
		.amdhsa_user_sgpr_flat_scratch_init 0
		.amdhsa_user_sgpr_private_segment_size 0
		.amdhsa_uses_dynamic_stack 0
		.amdhsa_system_sgpr_private_segment_wavefront_offset 0
		.amdhsa_system_sgpr_workgroup_id_x 1
		.amdhsa_system_sgpr_workgroup_id_y 1
		.amdhsa_system_sgpr_workgroup_id_z 1
		.amdhsa_system_sgpr_workgroup_info 0
		.amdhsa_system_vgpr_workitem_id 1
		.amdhsa_next_free_vgpr 12
		.amdhsa_next_free_sgpr 16
		.amdhsa_reserve_vcc 1
		.amdhsa_reserve_flat_scratch 0
		.amdhsa_float_round_mode_32 0
		.amdhsa_float_round_mode_16_64 0
		.amdhsa_float_denorm_mode_32 3
		.amdhsa_float_denorm_mode_16_64 3
		.amdhsa_dx10_clamp 1
		.amdhsa_ieee_mode 1
		.amdhsa_fp16_overflow 0
		.amdhsa_exception_fp_ieee_invalid_op 0
		.amdhsa_exception_fp_denorm_src 0
		.amdhsa_exception_fp_ieee_div_zero 0
		.amdhsa_exception_fp_ieee_overflow 0
		.amdhsa_exception_fp_ieee_underflow 0
		.amdhsa_exception_fp_ieee_inexact 0
		.amdhsa_exception_int_div_zero 0
	.end_amdhsa_kernel
	.section	.text._Z34scaled_masked_softmax_warp_forwardI14__hip_bfloat16S0_fLi0EEvPT0_PKT_PKhT1_iii,"axG",@progbits,_Z34scaled_masked_softmax_warp_forwardI14__hip_bfloat16S0_fLi0EEvPT0_PKT_PKhT1_iii,comdat
.Lfunc_end11:
	.size	_Z34scaled_masked_softmax_warp_forwardI14__hip_bfloat16S0_fLi0EEvPT0_PKT_PKhT1_iii, .Lfunc_end11-_Z34scaled_masked_softmax_warp_forwardI14__hip_bfloat16S0_fLi0EEvPT0_PKT_PKhT1_iii
                                        ; -- End function
	.set _Z34scaled_masked_softmax_warp_forwardI14__hip_bfloat16S0_fLi0EEvPT0_PKT_PKhT1_iii.num_vgpr, 12
	.set _Z34scaled_masked_softmax_warp_forwardI14__hip_bfloat16S0_fLi0EEvPT0_PKT_PKhT1_iii.num_agpr, 0
	.set _Z34scaled_masked_softmax_warp_forwardI14__hip_bfloat16S0_fLi0EEvPT0_PKT_PKhT1_iii.numbered_sgpr, 16
	.set _Z34scaled_masked_softmax_warp_forwardI14__hip_bfloat16S0_fLi0EEvPT0_PKT_PKhT1_iii.num_named_barrier, 0
	.set _Z34scaled_masked_softmax_warp_forwardI14__hip_bfloat16S0_fLi0EEvPT0_PKT_PKhT1_iii.private_seg_size, 0
	.set _Z34scaled_masked_softmax_warp_forwardI14__hip_bfloat16S0_fLi0EEvPT0_PKT_PKhT1_iii.uses_vcc, 1
	.set _Z34scaled_masked_softmax_warp_forwardI14__hip_bfloat16S0_fLi0EEvPT0_PKT_PKhT1_iii.uses_flat_scratch, 0
	.set _Z34scaled_masked_softmax_warp_forwardI14__hip_bfloat16S0_fLi0EEvPT0_PKT_PKhT1_iii.has_dyn_sized_stack, 0
	.set _Z34scaled_masked_softmax_warp_forwardI14__hip_bfloat16S0_fLi0EEvPT0_PKT_PKhT1_iii.has_recursion, 0
	.set _Z34scaled_masked_softmax_warp_forwardI14__hip_bfloat16S0_fLi0EEvPT0_PKT_PKhT1_iii.has_indirect_call, 0
	.section	.AMDGPU.csdata,"",@progbits
; Kernel info:
; codeLenInByte = 996
; TotalNumSgprs: 20
; NumVgprs: 12
; ScratchSize: 0
; MemoryBound: 0
; FloatMode: 240
; IeeeMode: 1
; LDSByteSize: 0 bytes/workgroup (compile time only)
; SGPRBlocks: 2
; VGPRBlocks: 2
; NumSGPRsForWavesPerEU: 20
; NumVGPRsForWavesPerEU: 12
; Occupancy: 10
; WaveLimiterHint : 0
; COMPUTE_PGM_RSRC2:SCRATCH_EN: 0
; COMPUTE_PGM_RSRC2:USER_SGPR: 6
; COMPUTE_PGM_RSRC2:TRAP_HANDLER: 0
; COMPUTE_PGM_RSRC2:TGID_X_EN: 1
; COMPUTE_PGM_RSRC2:TGID_Y_EN: 1
; COMPUTE_PGM_RSRC2:TGID_Z_EN: 1
; COMPUTE_PGM_RSRC2:TIDIG_COMP_CNT: 1
	.section	.text._Z34scaled_masked_softmax_warp_forwardI14__hip_bfloat16S0_fLi1EEvPT0_PKT_PKhT1_iii,"axG",@progbits,_Z34scaled_masked_softmax_warp_forwardI14__hip_bfloat16S0_fLi1EEvPT0_PKT_PKhT1_iii,comdat
	.protected	_Z34scaled_masked_softmax_warp_forwardI14__hip_bfloat16S0_fLi1EEvPT0_PKT_PKhT1_iii ; -- Begin function _Z34scaled_masked_softmax_warp_forwardI14__hip_bfloat16S0_fLi1EEvPT0_PKT_PKhT1_iii
	.globl	_Z34scaled_masked_softmax_warp_forwardI14__hip_bfloat16S0_fLi1EEvPT0_PKT_PKhT1_iii
	.p2align	8
	.type	_Z34scaled_masked_softmax_warp_forwardI14__hip_bfloat16S0_fLi1EEvPT0_PKT_PKhT1_iii,@function
_Z34scaled_masked_softmax_warp_forwardI14__hip_bfloat16S0_fLi1EEvPT0_PKT_PKhT1_iii: ; @_Z34scaled_masked_softmax_warp_forwardI14__hip_bfloat16S0_fLi1EEvPT0_PKT_PKhT1_iii
; %bb.0:
	s_load_dword s2, s[4:5], 0x34
	s_load_dwordx4 s[12:15], s[4:5], 0x18
	s_load_dwordx2 s[0:1], s[4:5], 0x28
	s_waitcnt lgkmcnt(0)
	s_lshr_b32 s2, s2, 16
	s_cmp_eq_u32 s15, 1
	s_mov_b32 s15, s6
	s_cbranch_scc1 .LBB12_2
; %bb.1:
	s_mul_i32 s3, s0, s8
	s_add_i32 s15, s3, s6
.LBB12_2:
	s_mul_i32 s1, s1, s8
	s_add_i32 s1, s1, s7
	s_mul_i32 s0, s0, s1
	s_and_b32 s16, 0xffff, s2
	s_add_i32 s0, s0, s6
	s_mul_i32 s0, s0, s16
	v_add_lshl_u32 v4, s0, v1, 1
	v_mad_u64_u32 v[2:3], s[0:1], v4, s14, v[0:1]
	s_load_dwordx4 s[8:11], s[4:5], 0x0
	s_load_dwordx2 s[2:3], s[4:5], 0x10
	v_sub_u32_e32 v8, s13, v4
	v_ashrrev_i32_e32 v3, 31, v2
	v_lshlrev_b64 v[2:3], 1, v[2:3]
	v_cmp_lt_i32_e32 vcc, 0, v8
	v_mov_b32_e32 v10, 0
	v_mov_b32_e32 v9, 0
	s_and_saveexec_b64 s[4:5], vcc
	s_cbranch_execz .LBB12_12
; %bb.3:
	s_mul_i32 s0, s15, s16
	v_add_u32_e32 v1, s0, v1
	v_mul_lo_u32 v1, s14, v1
	s_waitcnt lgkmcnt(0)
	v_mov_b32_e32 v4, s11
	v_add_co_u32_e64 v6, s[0:1], s10, v2
	v_addc_co_u32_e64 v7, s[0:1], v4, v3, s[0:1]
	v_lshl_add_u32 v1, v1, 1, v0
	v_ashrrev_i32_e32 v5, 31, v1
	v_mov_b32_e32 v9, s3
	v_add_co_u32_e64 v4, s[0:1], s2, v1
	v_addc_co_u32_e64 v5, s[0:1], v9, v5, s[0:1]
	v_cmp_le_i32_e64 s[0:1], s14, v0
	v_cmp_gt_i32_e64 s[2:3], s14, v0
	v_mov_b32_e32 v10, 0
	v_mov_b32_e32 v9, 0xff800000
	s_and_saveexec_b64 s[6:7], s[2:3]
	s_cbranch_execz .LBB12_5
; %bb.4:
	global_load_ushort v1, v[6:7], off
	global_load_ubyte v9, v[4:5], off
	v_mov_b32_e32 v11, 0xc61c4000
	s_waitcnt vmcnt(1)
	v_lshlrev_b32_e32 v1, 16, v1
	v_mul_f32_e32 v1, s12, v1
	s_waitcnt vmcnt(0)
	v_cmp_ne_u16_e64 s[2:3], 1, v9
	v_cndmask_b32_e64 v9, v11, v1, s[2:3]
.LBB12_5:
	s_or_b64 exec, exec, s[6:7]
	v_cmp_ne_u32_e64 s[2:3], 1, v8
	s_and_saveexec_b64 s[6:7], s[2:3]
	s_xor_b64 s[2:3], exec, s[6:7]
	s_cbranch_execz .LBB12_11
; %bb.6:
	s_and_saveexec_b64 s[6:7], s[0:1]
	s_xor_b64 s[0:1], exec, s[6:7]
; %bb.7:
                                        ; implicit-def: $vgpr4
                                        ; implicit-def: $vgpr6
; %bb.8:
	s_or_saveexec_b64 s[6:7], s[0:1]
	v_mov_b32_e32 v10, 0xff800000
	s_xor_b64 exec, exec, s[6:7]
	s_cbranch_execz .LBB12_10
; %bb.9:
	s_mov_b32 s15, 0
	s_lshl_b64 s[0:1], s[14:15], 1
	v_mov_b32_e32 v1, s1
	v_add_co_u32_e64 v6, s[0:1], s0, v6
	v_addc_co_u32_e64 v7, s[0:1], v7, v1, s[0:1]
	v_add_co_u32_e64 v4, s[0:1], s14, v4
	global_load_ushort v1, v[6:7], off
	v_addc_co_u32_e64 v5, s[0:1], 0, v5, s[0:1]
	global_load_ubyte v4, v[4:5], off
	v_mov_b32_e32 v5, 0xc61c4000
	s_waitcnt vmcnt(1)
	v_lshlrev_b32_e32 v1, 16, v1
	v_mul_f32_e32 v1, s12, v1
	s_waitcnt vmcnt(0)
	v_cmp_eq_u16_e64 s[0:1], 1, v4
	v_cndmask_b32_e64 v10, v1, v5, s[0:1]
.LBB12_10:
	s_or_b64 exec, exec, s[6:7]
.LBB12_11:
	s_or_b64 exec, exec, s[2:3]
.LBB12_12:
	s_or_b64 exec, exec, s[4:5]
	v_mbcnt_lo_u32_b32 v1, -1, 0
	v_mbcnt_hi_u32_b32 v1, -1, v1
	v_and_b32_e32 v5, 0x7e, v1
	v_xor_b32_e32 v4, 1, v1
	v_add_u32_e32 v5, 2, v5
	v_cmp_lt_i32_e64 s[0:1], v4, v5
	v_cndmask_b32_e64 v1, v1, v4, s[0:1]
	v_lshlrev_b32_e32 v1, 2, v1
	ds_bpermute_b32 v4, v1, v9
	ds_bpermute_b32 v5, v1, v10
	s_waitcnt lgkmcnt(0)
	s_mov_b32 s2, 0x3fb8aa3b
	s_mov_b32 s3, 0xc2ce8ed0
	;; [unrolled: 1-line block ×3, first 2 shown]
	v_cmp_lt_f32_e64 s[0:1], v9, v4
	v_cndmask_b32_e64 v6, v9, v4, s[0:1]
	v_sub_f32_e32 v7, v9, v6
	v_mul_f32_e32 v4, 0x3fb8aa3b, v7
	v_fma_f32 v9, v7, s2, -v4
	v_rndne_f32_e32 v11, v4
	v_fmac_f32_e32 v9, 0x32a5705f, v7
	v_sub_f32_e32 v4, v4, v11
	v_add_f32_e32 v4, v4, v9
	v_exp_f32_e32 v9, v4
	v_cvt_i32_f32_e32 v11, v11
	v_cmp_lt_f32_e64 s[0:1], v10, v5
	v_cndmask_b32_e64 v4, v10, v5, s[0:1]
	v_sub_f32_e32 v10, v10, v4
	v_ldexp_f32 v5, v9, v11
	v_mul_f32_e32 v9, 0x3fb8aa3b, v10
	v_fma_f32 v11, v10, s2, -v9
	v_rndne_f32_e32 v12, v9
	v_fmac_f32_e32 v11, 0x32a5705f, v10
	v_sub_f32_e32 v9, v9, v12
	v_add_f32_e32 v9, v9, v11
	v_exp_f32_e32 v11, v9
	v_cvt_i32_f32_e32 v12, v12
	v_cmp_ngt_f32_e64 s[0:1], s3, v7
	v_cndmask_b32_e64 v5, 0, v5, s[0:1]
	v_mov_b32_e32 v13, 0x7f800000
	v_cmp_nlt_f32_e64 s[0:1], s4, v7
	v_cndmask_b32_e64 v9, v13, v5, s[0:1]
	v_ldexp_f32 v5, v11, v12
	v_cmp_ngt_f32_e64 s[0:1], s3, v10
	v_cndmask_b32_e64 v5, 0, v5, s[0:1]
	v_cmp_nlt_f32_e64 s[0:1], s4, v10
	v_cndmask_b32_e64 v5, v13, v5, s[0:1]
	ds_bpermute_b32 v10, v1, v9
	ds_bpermute_b32 v7, v1, v5
	s_and_saveexec_b64 s[0:1], vcc
	s_cbranch_execz .LBB12_17
; %bb.13:
	v_mov_b32_e32 v11, s9
	v_add_co_u32_e32 v1, vcc, s8, v2
	v_addc_co_u32_e32 v2, vcc, v11, v3, vcc
	v_cmp_le_i32_e64 s[0:1], s14, v0
	v_cmp_gt_i32_e32 vcc, s14, v0
	s_and_saveexec_b64 s[4:5], vcc
	s_cbranch_execz .LBB12_15
; %bb.14:
	s_waitcnt lgkmcnt(1)
	v_add_f32_e32 v0, v9, v10
	v_div_scale_f32 v3, s[2:3], v0, v0, v9
	v_div_scale_f32 v10, vcc, v9, v0, v9
	s_mov_b32 s2, 0xc61c4000
	s_movk_i32 s3, 0x7fff
	v_rcp_f32_e32 v11, v3
	v_fma_f32 v12, -v3, v11, 1.0
	v_fmac_f32_e32 v11, v12, v11
	v_mul_f32_e32 v12, v10, v11
	v_fma_f32 v13, -v3, v12, v10
	v_fmac_f32_e32 v12, v13, v11
	v_fma_f32 v3, -v3, v12, v10
	v_div_fmas_f32 v3, v3, v11, v12
	v_cmp_neq_f32_e32 vcc, s2, v6
	v_mov_b32_e32 v10, 0
	v_div_fixup_f32 v0, v3, v0, v9
	v_bfe_u32 v3, v0, 16, 1
	v_or_b32_e32 v6, 0x400000, v0
	v_add3_u32 v3, v3, v0, s3
	v_cmp_u_f32_e64 s[2:3], v0, v0
	v_cndmask_b32_e64 v0, v3, v6, s[2:3]
	v_cndmask_b32_sdwa v0, v10, v0, vcc dst_sel:DWORD dst_unused:UNUSED_PAD src0_sel:DWORD src1_sel:WORD_1
	global_store_short v[1:2], v0, off
.LBB12_15:
	s_or_b64 exec, exec, s[4:5]
	v_cmp_ne_u32_e32 vcc, 1, v8
	s_xor_b64 s[0:1], s[0:1], -1
	s_and_b64 s[0:1], vcc, s[0:1]
	s_and_saveexec_b64 s[2:3], s[0:1]
	s_xor_b64 s[2:3], exec, s[2:3]
	s_cbranch_execz .LBB12_17
; %bb.16:
	s_waitcnt lgkmcnt(0)
	v_add_f32_e32 v3, v5, v7
	v_div_scale_f32 v0, s[0:1], v3, v3, v5
	v_div_scale_f32 v6, vcc, v5, v3, v5
	s_mov_b32 s0, 0xc61c4000
	s_mov_b32 s15, 0
	s_movk_i32 s2, 0x7fff
	v_rcp_f32_e32 v7, v0
	v_fma_f32 v8, -v0, v7, 1.0
	v_fmac_f32_e32 v7, v8, v7
	v_mul_f32_e32 v8, v6, v7
	v_fma_f32 v9, -v0, v8, v6
	v_fmac_f32_e32 v8, v9, v7
	v_fma_f32 v0, -v0, v8, v6
	v_div_fmas_f32 v6, v0, v7, v8
	v_cmp_neq_f32_e32 vcc, s0, v4
	s_lshl_b64 s[0:1], s[14:15], 1
	v_mov_b32_e32 v4, s1
	v_add_co_u32_e64 v0, s[0:1], s0, v1
	v_addc_co_u32_e64 v1, s[0:1], v2, v4, s[0:1]
	v_mov_b32_e32 v7, 0
	v_div_fixup_f32 v2, v6, v3, v5
	v_bfe_u32 v3, v2, 16, 1
	v_or_b32_e32 v4, 0x400000, v2
	v_add3_u32 v3, v3, v2, s2
	v_cmp_u_f32_e64 s[0:1], v2, v2
	v_cndmask_b32_e64 v2, v3, v4, s[0:1]
	v_cndmask_b32_sdwa v2, v7, v2, vcc dst_sel:DWORD dst_unused:UNUSED_PAD src0_sel:DWORD src1_sel:WORD_1
	global_store_short v[0:1], v2, off
.LBB12_17:
	s_endpgm
	.section	.rodata,"a",@progbits
	.p2align	6, 0x0
	.amdhsa_kernel _Z34scaled_masked_softmax_warp_forwardI14__hip_bfloat16S0_fLi1EEvPT0_PKT_PKhT1_iii
		.amdhsa_group_segment_fixed_size 0
		.amdhsa_private_segment_fixed_size 0
		.amdhsa_kernarg_size 296
		.amdhsa_user_sgpr_count 6
		.amdhsa_user_sgpr_private_segment_buffer 1
		.amdhsa_user_sgpr_dispatch_ptr 0
		.amdhsa_user_sgpr_queue_ptr 0
		.amdhsa_user_sgpr_kernarg_segment_ptr 1
		.amdhsa_user_sgpr_dispatch_id 0
		.amdhsa_user_sgpr_flat_scratch_init 0
		.amdhsa_user_sgpr_private_segment_size 0
		.amdhsa_uses_dynamic_stack 0
		.amdhsa_system_sgpr_private_segment_wavefront_offset 0
		.amdhsa_system_sgpr_workgroup_id_x 1
		.amdhsa_system_sgpr_workgroup_id_y 1
		.amdhsa_system_sgpr_workgroup_id_z 1
		.amdhsa_system_sgpr_workgroup_info 0
		.amdhsa_system_vgpr_workitem_id 1
		.amdhsa_next_free_vgpr 14
		.amdhsa_next_free_sgpr 17
		.amdhsa_reserve_vcc 1
		.amdhsa_reserve_flat_scratch 0
		.amdhsa_float_round_mode_32 0
		.amdhsa_float_round_mode_16_64 0
		.amdhsa_float_denorm_mode_32 3
		.amdhsa_float_denorm_mode_16_64 3
		.amdhsa_dx10_clamp 1
		.amdhsa_ieee_mode 1
		.amdhsa_fp16_overflow 0
		.amdhsa_exception_fp_ieee_invalid_op 0
		.amdhsa_exception_fp_denorm_src 0
		.amdhsa_exception_fp_ieee_div_zero 0
		.amdhsa_exception_fp_ieee_overflow 0
		.amdhsa_exception_fp_ieee_underflow 0
		.amdhsa_exception_fp_ieee_inexact 0
		.amdhsa_exception_int_div_zero 0
	.end_amdhsa_kernel
	.section	.text._Z34scaled_masked_softmax_warp_forwardI14__hip_bfloat16S0_fLi1EEvPT0_PKT_PKhT1_iii,"axG",@progbits,_Z34scaled_masked_softmax_warp_forwardI14__hip_bfloat16S0_fLi1EEvPT0_PKT_PKhT1_iii,comdat
.Lfunc_end12:
	.size	_Z34scaled_masked_softmax_warp_forwardI14__hip_bfloat16S0_fLi1EEvPT0_PKT_PKhT1_iii, .Lfunc_end12-_Z34scaled_masked_softmax_warp_forwardI14__hip_bfloat16S0_fLi1EEvPT0_PKT_PKhT1_iii
                                        ; -- End function
	.set _Z34scaled_masked_softmax_warp_forwardI14__hip_bfloat16S0_fLi1EEvPT0_PKT_PKhT1_iii.num_vgpr, 14
	.set _Z34scaled_masked_softmax_warp_forwardI14__hip_bfloat16S0_fLi1EEvPT0_PKT_PKhT1_iii.num_agpr, 0
	.set _Z34scaled_masked_softmax_warp_forwardI14__hip_bfloat16S0_fLi1EEvPT0_PKT_PKhT1_iii.numbered_sgpr, 17
	.set _Z34scaled_masked_softmax_warp_forwardI14__hip_bfloat16S0_fLi1EEvPT0_PKT_PKhT1_iii.num_named_barrier, 0
	.set _Z34scaled_masked_softmax_warp_forwardI14__hip_bfloat16S0_fLi1EEvPT0_PKT_PKhT1_iii.private_seg_size, 0
	.set _Z34scaled_masked_softmax_warp_forwardI14__hip_bfloat16S0_fLi1EEvPT0_PKT_PKhT1_iii.uses_vcc, 1
	.set _Z34scaled_masked_softmax_warp_forwardI14__hip_bfloat16S0_fLi1EEvPT0_PKT_PKhT1_iii.uses_flat_scratch, 0
	.set _Z34scaled_masked_softmax_warp_forwardI14__hip_bfloat16S0_fLi1EEvPT0_PKT_PKhT1_iii.has_dyn_sized_stack, 0
	.set _Z34scaled_masked_softmax_warp_forwardI14__hip_bfloat16S0_fLi1EEvPT0_PKT_PKhT1_iii.has_recursion, 0
	.set _Z34scaled_masked_softmax_warp_forwardI14__hip_bfloat16S0_fLi1EEvPT0_PKT_PKhT1_iii.has_indirect_call, 0
	.section	.AMDGPU.csdata,"",@progbits
; Kernel info:
; codeLenInByte = 1216
; TotalNumSgprs: 21
; NumVgprs: 14
; ScratchSize: 0
; MemoryBound: 0
; FloatMode: 240
; IeeeMode: 1
; LDSByteSize: 0 bytes/workgroup (compile time only)
; SGPRBlocks: 2
; VGPRBlocks: 3
; NumSGPRsForWavesPerEU: 21
; NumVGPRsForWavesPerEU: 14
; Occupancy: 10
; WaveLimiterHint : 0
; COMPUTE_PGM_RSRC2:SCRATCH_EN: 0
; COMPUTE_PGM_RSRC2:USER_SGPR: 6
; COMPUTE_PGM_RSRC2:TRAP_HANDLER: 0
; COMPUTE_PGM_RSRC2:TGID_X_EN: 1
; COMPUTE_PGM_RSRC2:TGID_Y_EN: 1
; COMPUTE_PGM_RSRC2:TGID_Z_EN: 1
; COMPUTE_PGM_RSRC2:TIDIG_COMP_CNT: 1
	.section	.text._Z34scaled_masked_softmax_warp_forwardI14__hip_bfloat16S0_fLi2EEvPT0_PKT_PKhT1_iii,"axG",@progbits,_Z34scaled_masked_softmax_warp_forwardI14__hip_bfloat16S0_fLi2EEvPT0_PKT_PKhT1_iii,comdat
	.protected	_Z34scaled_masked_softmax_warp_forwardI14__hip_bfloat16S0_fLi2EEvPT0_PKT_PKhT1_iii ; -- Begin function _Z34scaled_masked_softmax_warp_forwardI14__hip_bfloat16S0_fLi2EEvPT0_PKT_PKhT1_iii
	.globl	_Z34scaled_masked_softmax_warp_forwardI14__hip_bfloat16S0_fLi2EEvPT0_PKT_PKhT1_iii
	.p2align	8
	.type	_Z34scaled_masked_softmax_warp_forwardI14__hip_bfloat16S0_fLi2EEvPT0_PKT_PKhT1_iii,@function
_Z34scaled_masked_softmax_warp_forwardI14__hip_bfloat16S0_fLi2EEvPT0_PKT_PKhT1_iii: ; @_Z34scaled_masked_softmax_warp_forwardI14__hip_bfloat16S0_fLi2EEvPT0_PKT_PKhT1_iii
; %bb.0:
	s_load_dword s2, s[4:5], 0x34
	s_load_dwordx4 s[12:15], s[4:5], 0x18
	s_load_dwordx2 s[0:1], s[4:5], 0x28
	s_waitcnt lgkmcnt(0)
	s_lshr_b32 s2, s2, 16
	s_cmp_eq_u32 s15, 1
	s_mov_b32 s15, s6
	s_cbranch_scc1 .LBB13_2
; %bb.1:
	s_mul_i32 s3, s0, s8
	s_add_i32 s15, s3, s6
.LBB13_2:
	s_mul_i32 s1, s1, s8
	s_add_i32 s1, s1, s7
	s_mul_i32 s0, s0, s1
	s_and_b32 s16, 0xffff, s2
	s_add_i32 s0, s0, s6
	s_mul_i32 s0, s0, s16
	v_add_lshl_u32 v4, s0, v1, 1
	v_mad_u64_u32 v[2:3], s[0:1], v4, s14, v[0:1]
	s_load_dwordx4 s[8:11], s[4:5], 0x0
	s_load_dwordx2 s[2:3], s[4:5], 0x10
	v_sub_u32_e32 v8, s13, v4
	v_ashrrev_i32_e32 v3, 31, v2
	v_lshlrev_b64 v[2:3], 1, v[2:3]
	v_cmp_lt_i32_e32 vcc, 0, v8
	v_mov_b32_e32 v10, 0
	v_mov_b32_e32 v9, 0
	s_and_saveexec_b64 s[4:5], vcc
	s_cbranch_execz .LBB13_12
; %bb.3:
	s_mul_i32 s0, s15, s16
	v_add_u32_e32 v1, s0, v1
	v_mul_lo_u32 v1, s14, v1
	s_waitcnt lgkmcnt(0)
	v_mov_b32_e32 v4, s11
	v_add_co_u32_e64 v6, s[0:1], s10, v2
	v_addc_co_u32_e64 v7, s[0:1], v4, v3, s[0:1]
	v_lshl_add_u32 v1, v1, 1, v0
	v_ashrrev_i32_e32 v5, 31, v1
	v_mov_b32_e32 v9, s3
	v_add_co_u32_e64 v4, s[0:1], s2, v1
	v_addc_co_u32_e64 v5, s[0:1], v9, v5, s[0:1]
	v_cmp_le_i32_e64 s[0:1], s14, v0
	v_cmp_gt_i32_e64 s[2:3], s14, v0
	v_mov_b32_e32 v10, 0
	v_mov_b32_e32 v9, 0xff800000
	s_and_saveexec_b64 s[6:7], s[2:3]
	s_cbranch_execz .LBB13_5
; %bb.4:
	global_load_ushort v1, v[6:7], off
	global_load_ubyte v9, v[4:5], off
	v_mov_b32_e32 v11, 0xc61c4000
	s_waitcnt vmcnt(1)
	v_lshlrev_b32_e32 v1, 16, v1
	v_mul_f32_e32 v1, s12, v1
	s_waitcnt vmcnt(0)
	v_cmp_ne_u16_e64 s[2:3], 1, v9
	v_cndmask_b32_e64 v9, v11, v1, s[2:3]
.LBB13_5:
	s_or_b64 exec, exec, s[6:7]
	v_cmp_ne_u32_e64 s[2:3], 1, v8
	s_and_saveexec_b64 s[6:7], s[2:3]
	s_xor_b64 s[2:3], exec, s[6:7]
	s_cbranch_execz .LBB13_11
; %bb.6:
	s_and_saveexec_b64 s[6:7], s[0:1]
	s_xor_b64 s[0:1], exec, s[6:7]
; %bb.7:
                                        ; implicit-def: $vgpr4
                                        ; implicit-def: $vgpr6
; %bb.8:
	s_or_saveexec_b64 s[6:7], s[0:1]
	v_mov_b32_e32 v10, 0xff800000
	s_xor_b64 exec, exec, s[6:7]
	s_cbranch_execz .LBB13_10
; %bb.9:
	s_mov_b32 s15, 0
	s_lshl_b64 s[0:1], s[14:15], 1
	v_mov_b32_e32 v1, s1
	v_add_co_u32_e64 v6, s[0:1], s0, v6
	v_addc_co_u32_e64 v7, s[0:1], v7, v1, s[0:1]
	v_add_co_u32_e64 v4, s[0:1], s14, v4
	global_load_ushort v1, v[6:7], off
	v_addc_co_u32_e64 v5, s[0:1], 0, v5, s[0:1]
	global_load_ubyte v4, v[4:5], off
	v_mov_b32_e32 v5, 0xc61c4000
	s_waitcnt vmcnt(1)
	v_lshlrev_b32_e32 v1, 16, v1
	v_mul_f32_e32 v1, s12, v1
	s_waitcnt vmcnt(0)
	v_cmp_eq_u16_e64 s[0:1], 1, v4
	v_cndmask_b32_e64 v10, v1, v5, s[0:1]
.LBB13_10:
	s_or_b64 exec, exec, s[6:7]
.LBB13_11:
	s_or_b64 exec, exec, s[2:3]
.LBB13_12:
	s_or_b64 exec, exec, s[4:5]
	v_mbcnt_lo_u32_b32 v1, -1, 0
	v_mbcnt_hi_u32_b32 v1, -1, v1
	v_and_b32_e32 v4, 0x7c, v1
	v_add_u32_e32 v4, 4, v4
	v_xor_b32_e32 v5, 2, v1
	v_cmp_lt_i32_e64 s[0:1], v5, v4
	v_cndmask_b32_e64 v5, v1, v5, s[0:1]
	v_lshlrev_b32_e32 v7, 2, v5
	ds_bpermute_b32 v5, v7, v9
	v_xor_b32_e32 v11, 1, v1
	ds_bpermute_b32 v6, v7, v10
	s_waitcnt lgkmcnt(0)
	s_mov_b32 s2, 0x3fb8aa3b
	s_mov_b32 s3, 0xc2ce8ed0
	v_cmp_lt_f32_e64 s[0:1], v9, v5
	v_cndmask_b32_e64 v5, v9, v5, s[0:1]
	v_cmp_lt_i32_e64 s[0:1], v11, v4
	v_cndmask_b32_e64 v1, v1, v11, s[0:1]
	v_lshlrev_b32_e32 v1, 2, v1
	ds_bpermute_b32 v4, v1, v5
	v_cmp_lt_f32_e64 s[0:1], v10, v6
	v_cndmask_b32_e64 v11, v10, v6, s[0:1]
	s_mov_b32 s4, 0x42b17218
	v_mov_b32_e32 v14, 0x7f800000
	s_waitcnt lgkmcnt(0)
	v_cmp_lt_f32_e64 s[0:1], v5, v4
	v_cndmask_b32_e64 v6, v5, v4, s[0:1]
	ds_bpermute_b32 v4, v1, v11
	v_sub_f32_e32 v5, v9, v6
	v_mul_f32_e32 v9, 0x3fb8aa3b, v5
	v_fma_f32 v12, v5, s2, -v9
	v_rndne_f32_e32 v13, v9
	v_fmac_f32_e32 v12, 0x32a5705f, v5
	v_sub_f32_e32 v9, v9, v13
	v_add_f32_e32 v9, v9, v12
	v_exp_f32_e32 v9, v9
	v_cvt_i32_f32_e32 v12, v13
	s_waitcnt lgkmcnt(0)
	v_cmp_lt_f32_e64 s[0:1], v11, v4
	v_cndmask_b32_e64 v4, v11, v4, s[0:1]
	v_sub_f32_e32 v11, v10, v4
	v_mul_f32_e32 v10, 0x3fb8aa3b, v11
	v_ldexp_f32 v9, v9, v12
	v_fma_f32 v12, v11, s2, -v10
	v_rndne_f32_e32 v13, v10
	v_fmac_f32_e32 v12, 0x32a5705f, v11
	v_sub_f32_e32 v10, v10, v13
	v_add_f32_e32 v10, v10, v12
	v_exp_f32_e32 v12, v10
	v_cvt_i32_f32_e32 v13, v13
	v_cmp_ngt_f32_e64 s[0:1], s3, v5
	v_cndmask_b32_e64 v9, 0, v9, s[0:1]
	v_cmp_nlt_f32_e64 s[0:1], s4, v5
	v_cndmask_b32_e64 v10, v14, v9, s[0:1]
	v_ldexp_f32 v5, v12, v13
	v_cmp_ngt_f32_e64 s[0:1], s3, v11
	v_cndmask_b32_e64 v5, 0, v5, s[0:1]
	v_cmp_nlt_f32_e64 s[0:1], s4, v11
	v_cndmask_b32_e64 v5, v14, v5, s[0:1]
	ds_bpermute_b32 v9, v7, v10
	ds_bpermute_b32 v7, v7, v5
	s_waitcnt lgkmcnt(1)
	v_add_f32_e32 v11, v10, v9
	s_waitcnt lgkmcnt(0)
	v_add_f32_e32 v7, v5, v7
	ds_bpermute_b32 v12, v1, v11
	ds_bpermute_b32 v9, v1, v7
	s_and_saveexec_b64 s[0:1], vcc
	s_cbranch_execz .LBB13_17
; %bb.13:
	v_mov_b32_e32 v13, s9
	v_add_co_u32_e32 v1, vcc, s8, v2
	v_addc_co_u32_e32 v2, vcc, v13, v3, vcc
	v_cmp_le_i32_e64 s[0:1], s14, v0
	v_cmp_gt_i32_e32 vcc, s14, v0
	s_and_saveexec_b64 s[4:5], vcc
	s_cbranch_execz .LBB13_15
; %bb.14:
	s_waitcnt lgkmcnt(1)
	v_add_f32_e32 v0, v11, v12
	v_div_scale_f32 v3, s[2:3], v0, v0, v10
	v_div_scale_f32 v11, vcc, v10, v0, v10
	s_mov_b32 s2, 0xc61c4000
	s_movk_i32 s3, 0x7fff
	v_rcp_f32_e32 v12, v3
	v_fma_f32 v13, -v3, v12, 1.0
	v_fmac_f32_e32 v12, v13, v12
	v_mul_f32_e32 v13, v11, v12
	v_fma_f32 v14, -v3, v13, v11
	v_fmac_f32_e32 v13, v14, v12
	v_fma_f32 v3, -v3, v13, v11
	v_div_fmas_f32 v3, v3, v12, v13
	v_cmp_neq_f32_e32 vcc, s2, v6
	v_mov_b32_e32 v11, 0
	v_div_fixup_f32 v0, v3, v0, v10
	v_bfe_u32 v3, v0, 16, 1
	v_or_b32_e32 v6, 0x400000, v0
	v_add3_u32 v3, v3, v0, s3
	v_cmp_u_f32_e64 s[2:3], v0, v0
	v_cndmask_b32_e64 v0, v3, v6, s[2:3]
	v_cndmask_b32_sdwa v0, v11, v0, vcc dst_sel:DWORD dst_unused:UNUSED_PAD src0_sel:DWORD src1_sel:WORD_1
	global_store_short v[1:2], v0, off
.LBB13_15:
	s_or_b64 exec, exec, s[4:5]
	v_cmp_ne_u32_e32 vcc, 1, v8
	s_xor_b64 s[0:1], s[0:1], -1
	s_and_b64 s[0:1], vcc, s[0:1]
	s_and_saveexec_b64 s[2:3], s[0:1]
	s_xor_b64 s[2:3], exec, s[2:3]
	s_cbranch_execz .LBB13_17
; %bb.16:
	s_waitcnt lgkmcnt(0)
	v_add_f32_e32 v3, v7, v9
	v_div_scale_f32 v0, s[0:1], v3, v3, v5
	v_div_scale_f32 v6, vcc, v5, v3, v5
	s_mov_b32 s0, 0xc61c4000
	s_mov_b32 s15, 0
	s_movk_i32 s2, 0x7fff
	v_rcp_f32_e32 v7, v0
	v_fma_f32 v8, -v0, v7, 1.0
	v_fmac_f32_e32 v7, v8, v7
	v_mul_f32_e32 v8, v6, v7
	v_fma_f32 v9, -v0, v8, v6
	v_fmac_f32_e32 v8, v9, v7
	v_fma_f32 v0, -v0, v8, v6
	v_div_fmas_f32 v6, v0, v7, v8
	v_cmp_neq_f32_e32 vcc, s0, v4
	s_lshl_b64 s[0:1], s[14:15], 1
	v_mov_b32_e32 v4, s1
	v_add_co_u32_e64 v0, s[0:1], s0, v1
	v_addc_co_u32_e64 v1, s[0:1], v2, v4, s[0:1]
	v_mov_b32_e32 v7, 0
	v_div_fixup_f32 v2, v6, v3, v5
	v_bfe_u32 v3, v2, 16, 1
	v_or_b32_e32 v4, 0x400000, v2
	v_add3_u32 v3, v3, v2, s2
	v_cmp_u_f32_e64 s[0:1], v2, v2
	v_cndmask_b32_e64 v2, v3, v4, s[0:1]
	v_cndmask_b32_sdwa v2, v7, v2, vcc dst_sel:DWORD dst_unused:UNUSED_PAD src0_sel:DWORD src1_sel:WORD_1
	global_store_short v[0:1], v2, off
.LBB13_17:
	s_endpgm
	.section	.rodata,"a",@progbits
	.p2align	6, 0x0
	.amdhsa_kernel _Z34scaled_masked_softmax_warp_forwardI14__hip_bfloat16S0_fLi2EEvPT0_PKT_PKhT1_iii
		.amdhsa_group_segment_fixed_size 0
		.amdhsa_private_segment_fixed_size 0
		.amdhsa_kernarg_size 296
		.amdhsa_user_sgpr_count 6
		.amdhsa_user_sgpr_private_segment_buffer 1
		.amdhsa_user_sgpr_dispatch_ptr 0
		.amdhsa_user_sgpr_queue_ptr 0
		.amdhsa_user_sgpr_kernarg_segment_ptr 1
		.amdhsa_user_sgpr_dispatch_id 0
		.amdhsa_user_sgpr_flat_scratch_init 0
		.amdhsa_user_sgpr_private_segment_size 0
		.amdhsa_uses_dynamic_stack 0
		.amdhsa_system_sgpr_private_segment_wavefront_offset 0
		.amdhsa_system_sgpr_workgroup_id_x 1
		.amdhsa_system_sgpr_workgroup_id_y 1
		.amdhsa_system_sgpr_workgroup_id_z 1
		.amdhsa_system_sgpr_workgroup_info 0
		.amdhsa_system_vgpr_workitem_id 1
		.amdhsa_next_free_vgpr 15
		.amdhsa_next_free_sgpr 17
		.amdhsa_reserve_vcc 1
		.amdhsa_reserve_flat_scratch 0
		.amdhsa_float_round_mode_32 0
		.amdhsa_float_round_mode_16_64 0
		.amdhsa_float_denorm_mode_32 3
		.amdhsa_float_denorm_mode_16_64 3
		.amdhsa_dx10_clamp 1
		.amdhsa_ieee_mode 1
		.amdhsa_fp16_overflow 0
		.amdhsa_exception_fp_ieee_invalid_op 0
		.amdhsa_exception_fp_denorm_src 0
		.amdhsa_exception_fp_ieee_div_zero 0
		.amdhsa_exception_fp_ieee_overflow 0
		.amdhsa_exception_fp_ieee_underflow 0
		.amdhsa_exception_fp_ieee_inexact 0
		.amdhsa_exception_int_div_zero 0
	.end_amdhsa_kernel
	.section	.text._Z34scaled_masked_softmax_warp_forwardI14__hip_bfloat16S0_fLi2EEvPT0_PKT_PKhT1_iii,"axG",@progbits,_Z34scaled_masked_softmax_warp_forwardI14__hip_bfloat16S0_fLi2EEvPT0_PKT_PKhT1_iii,comdat
.Lfunc_end13:
	.size	_Z34scaled_masked_softmax_warp_forwardI14__hip_bfloat16S0_fLi2EEvPT0_PKT_PKhT1_iii, .Lfunc_end13-_Z34scaled_masked_softmax_warp_forwardI14__hip_bfloat16S0_fLi2EEvPT0_PKT_PKhT1_iii
                                        ; -- End function
	.set _Z34scaled_masked_softmax_warp_forwardI14__hip_bfloat16S0_fLi2EEvPT0_PKT_PKhT1_iii.num_vgpr, 15
	.set _Z34scaled_masked_softmax_warp_forwardI14__hip_bfloat16S0_fLi2EEvPT0_PKT_PKhT1_iii.num_agpr, 0
	.set _Z34scaled_masked_softmax_warp_forwardI14__hip_bfloat16S0_fLi2EEvPT0_PKT_PKhT1_iii.numbered_sgpr, 17
	.set _Z34scaled_masked_softmax_warp_forwardI14__hip_bfloat16S0_fLi2EEvPT0_PKT_PKhT1_iii.num_named_barrier, 0
	.set _Z34scaled_masked_softmax_warp_forwardI14__hip_bfloat16S0_fLi2EEvPT0_PKT_PKhT1_iii.private_seg_size, 0
	.set _Z34scaled_masked_softmax_warp_forwardI14__hip_bfloat16S0_fLi2EEvPT0_PKT_PKhT1_iii.uses_vcc, 1
	.set _Z34scaled_masked_softmax_warp_forwardI14__hip_bfloat16S0_fLi2EEvPT0_PKT_PKhT1_iii.uses_flat_scratch, 0
	.set _Z34scaled_masked_softmax_warp_forwardI14__hip_bfloat16S0_fLi2EEvPT0_PKT_PKhT1_iii.has_dyn_sized_stack, 0
	.set _Z34scaled_masked_softmax_warp_forwardI14__hip_bfloat16S0_fLi2EEvPT0_PKT_PKhT1_iii.has_recursion, 0
	.set _Z34scaled_masked_softmax_warp_forwardI14__hip_bfloat16S0_fLi2EEvPT0_PKT_PKhT1_iii.has_indirect_call, 0
	.section	.AMDGPU.csdata,"",@progbits
; Kernel info:
; codeLenInByte = 1328
; TotalNumSgprs: 21
; NumVgprs: 15
; ScratchSize: 0
; MemoryBound: 0
; FloatMode: 240
; IeeeMode: 1
; LDSByteSize: 0 bytes/workgroup (compile time only)
; SGPRBlocks: 2
; VGPRBlocks: 3
; NumSGPRsForWavesPerEU: 21
; NumVGPRsForWavesPerEU: 15
; Occupancy: 10
; WaveLimiterHint : 0
; COMPUTE_PGM_RSRC2:SCRATCH_EN: 0
; COMPUTE_PGM_RSRC2:USER_SGPR: 6
; COMPUTE_PGM_RSRC2:TRAP_HANDLER: 0
; COMPUTE_PGM_RSRC2:TGID_X_EN: 1
; COMPUTE_PGM_RSRC2:TGID_Y_EN: 1
; COMPUTE_PGM_RSRC2:TGID_Z_EN: 1
; COMPUTE_PGM_RSRC2:TIDIG_COMP_CNT: 1
	.section	.text._Z34scaled_masked_softmax_warp_forwardI14__hip_bfloat16S0_fLi3EEvPT0_PKT_PKhT1_iii,"axG",@progbits,_Z34scaled_masked_softmax_warp_forwardI14__hip_bfloat16S0_fLi3EEvPT0_PKT_PKhT1_iii,comdat
	.protected	_Z34scaled_masked_softmax_warp_forwardI14__hip_bfloat16S0_fLi3EEvPT0_PKT_PKhT1_iii ; -- Begin function _Z34scaled_masked_softmax_warp_forwardI14__hip_bfloat16S0_fLi3EEvPT0_PKT_PKhT1_iii
	.globl	_Z34scaled_masked_softmax_warp_forwardI14__hip_bfloat16S0_fLi3EEvPT0_PKT_PKhT1_iii
	.p2align	8
	.type	_Z34scaled_masked_softmax_warp_forwardI14__hip_bfloat16S0_fLi3EEvPT0_PKT_PKhT1_iii,@function
_Z34scaled_masked_softmax_warp_forwardI14__hip_bfloat16S0_fLi3EEvPT0_PKT_PKhT1_iii: ; @_Z34scaled_masked_softmax_warp_forwardI14__hip_bfloat16S0_fLi3EEvPT0_PKT_PKhT1_iii
; %bb.0:
	s_load_dword s2, s[4:5], 0x34
	s_load_dwordx4 s[12:15], s[4:5], 0x18
	s_load_dwordx2 s[0:1], s[4:5], 0x28
	s_waitcnt lgkmcnt(0)
	s_lshr_b32 s2, s2, 16
	s_cmp_eq_u32 s15, 1
	s_mov_b32 s15, s6
	s_cbranch_scc1 .LBB14_2
; %bb.1:
	s_mul_i32 s3, s0, s8
	s_add_i32 s15, s3, s6
.LBB14_2:
	s_mul_i32 s1, s1, s8
	s_add_i32 s1, s1, s7
	s_mul_i32 s0, s0, s1
	s_and_b32 s16, 0xffff, s2
	s_add_i32 s0, s0, s6
	s_mul_i32 s0, s0, s16
	v_add_lshl_u32 v4, s0, v1, 1
	v_mad_u64_u32 v[2:3], s[0:1], v4, s14, v[0:1]
	s_load_dwordx4 s[8:11], s[4:5], 0x0
	s_load_dwordx2 s[2:3], s[4:5], 0x10
	v_sub_u32_e32 v8, s13, v4
	v_ashrrev_i32_e32 v3, 31, v2
	v_lshlrev_b64 v[2:3], 1, v[2:3]
	v_cmp_lt_i32_e32 vcc, 0, v8
	v_mov_b32_e32 v10, 0
	v_mov_b32_e32 v9, 0
	s_and_saveexec_b64 s[4:5], vcc
	s_cbranch_execz .LBB14_12
; %bb.3:
	s_mul_i32 s0, s15, s16
	v_add_u32_e32 v1, s0, v1
	v_mul_lo_u32 v1, s14, v1
	s_waitcnt lgkmcnt(0)
	v_mov_b32_e32 v4, s11
	v_add_co_u32_e64 v6, s[0:1], s10, v2
	v_addc_co_u32_e64 v7, s[0:1], v4, v3, s[0:1]
	v_lshl_add_u32 v1, v1, 1, v0
	v_ashrrev_i32_e32 v5, 31, v1
	v_mov_b32_e32 v9, s3
	v_add_co_u32_e64 v4, s[0:1], s2, v1
	v_addc_co_u32_e64 v5, s[0:1], v9, v5, s[0:1]
	v_cmp_le_i32_e64 s[0:1], s14, v0
	v_cmp_gt_i32_e64 s[2:3], s14, v0
	v_mov_b32_e32 v10, 0
	v_mov_b32_e32 v9, 0xff800000
	s_and_saveexec_b64 s[6:7], s[2:3]
	s_cbranch_execz .LBB14_5
; %bb.4:
	global_load_ushort v1, v[6:7], off
	global_load_ubyte v9, v[4:5], off
	v_mov_b32_e32 v11, 0xc61c4000
	s_waitcnt vmcnt(1)
	v_lshlrev_b32_e32 v1, 16, v1
	v_mul_f32_e32 v1, s12, v1
	s_waitcnt vmcnt(0)
	v_cmp_ne_u16_e64 s[2:3], 1, v9
	v_cndmask_b32_e64 v9, v11, v1, s[2:3]
.LBB14_5:
	s_or_b64 exec, exec, s[6:7]
	v_cmp_ne_u32_e64 s[2:3], 1, v8
	s_and_saveexec_b64 s[6:7], s[2:3]
	s_xor_b64 s[2:3], exec, s[6:7]
	s_cbranch_execz .LBB14_11
; %bb.6:
	s_and_saveexec_b64 s[6:7], s[0:1]
	s_xor_b64 s[0:1], exec, s[6:7]
; %bb.7:
                                        ; implicit-def: $vgpr4
                                        ; implicit-def: $vgpr6
; %bb.8:
	s_or_saveexec_b64 s[6:7], s[0:1]
	v_mov_b32_e32 v10, 0xff800000
	s_xor_b64 exec, exec, s[6:7]
	s_cbranch_execz .LBB14_10
; %bb.9:
	s_mov_b32 s15, 0
	s_lshl_b64 s[0:1], s[14:15], 1
	v_mov_b32_e32 v1, s1
	v_add_co_u32_e64 v6, s[0:1], s0, v6
	v_addc_co_u32_e64 v7, s[0:1], v7, v1, s[0:1]
	v_add_co_u32_e64 v4, s[0:1], s14, v4
	global_load_ushort v1, v[6:7], off
	v_addc_co_u32_e64 v5, s[0:1], 0, v5, s[0:1]
	global_load_ubyte v4, v[4:5], off
	v_mov_b32_e32 v5, 0xc61c4000
	s_waitcnt vmcnt(1)
	v_lshlrev_b32_e32 v1, 16, v1
	v_mul_f32_e32 v1, s12, v1
	s_waitcnt vmcnt(0)
	v_cmp_eq_u16_e64 s[0:1], 1, v4
	v_cndmask_b32_e64 v10, v1, v5, s[0:1]
.LBB14_10:
	s_or_b64 exec, exec, s[6:7]
.LBB14_11:
	s_or_b64 exec, exec, s[2:3]
.LBB14_12:
	s_or_b64 exec, exec, s[4:5]
	v_mbcnt_lo_u32_b32 v1, -1, 0
	v_mbcnt_hi_u32_b32 v1, -1, v1
	v_and_b32_e32 v4, 0x78, v1
	v_add_u32_e32 v4, 8, v4
	v_xor_b32_e32 v5, 4, v1
	v_cmp_lt_i32_e64 s[0:1], v5, v4
	v_cndmask_b32_e64 v5, v1, v5, s[0:1]
	v_lshlrev_b32_e32 v7, 2, v5
	ds_bpermute_b32 v5, v7, v9
	v_xor_b32_e32 v11, 2, v1
	ds_bpermute_b32 v6, v7, v10
	v_xor_b32_e32 v13, 1, v1
	s_waitcnt lgkmcnt(0)
	s_mov_b32 s2, 0x3fb8aa3b
	v_cmp_lt_f32_e64 s[0:1], v9, v5
	v_cndmask_b32_e64 v5, v9, v5, s[0:1]
	v_cmp_lt_i32_e64 s[0:1], v11, v4
	v_cndmask_b32_e64 v11, v1, v11, s[0:1]
	v_lshlrev_b32_e32 v11, 2, v11
	ds_bpermute_b32 v12, v11, v5
	v_cmp_lt_f32_e64 s[0:1], v10, v6
	v_cndmask_b32_e64 v6, v10, v6, s[0:1]
	s_mov_b32 s3, 0xc2ce8ed0
	s_mov_b32 s4, 0x42b17218
	s_waitcnt lgkmcnt(0)
	v_cmp_lt_f32_e64 s[0:1], v5, v12
	v_cndmask_b32_e64 v5, v5, v12, s[0:1]
	v_cmp_lt_i32_e64 s[0:1], v13, v4
	v_cndmask_b32_e64 v1, v1, v13, s[0:1]
	ds_bpermute_b32 v12, v11, v6
	v_lshlrev_b32_e32 v1, 2, v1
	ds_bpermute_b32 v4, v1, v5
	v_mov_b32_e32 v15, 0x7f800000
	s_waitcnt lgkmcnt(1)
	v_cmp_lt_f32_e64 s[0:1], v6, v12
	v_cndmask_b32_e64 v12, v6, v12, s[0:1]
	s_waitcnt lgkmcnt(0)
	v_cmp_lt_f32_e64 s[0:1], v5, v4
	v_cndmask_b32_e64 v6, v5, v4, s[0:1]
	ds_bpermute_b32 v4, v1, v12
	v_sub_f32_e32 v5, v9, v6
	v_mul_f32_e32 v9, 0x3fb8aa3b, v5
	v_fma_f32 v13, v5, s2, -v9
	v_rndne_f32_e32 v14, v9
	v_fmac_f32_e32 v13, 0x32a5705f, v5
	v_sub_f32_e32 v9, v9, v14
	v_add_f32_e32 v9, v9, v13
	v_exp_f32_e32 v9, v9
	v_cvt_i32_f32_e32 v13, v14
	s_waitcnt lgkmcnt(0)
	v_cmp_lt_f32_e64 s[0:1], v12, v4
	v_cndmask_b32_e64 v4, v12, v4, s[0:1]
	v_sub_f32_e32 v12, v10, v4
	v_mul_f32_e32 v10, 0x3fb8aa3b, v12
	v_ldexp_f32 v9, v9, v13
	v_fma_f32 v13, v12, s2, -v10
	v_rndne_f32_e32 v14, v10
	v_fmac_f32_e32 v13, 0x32a5705f, v12
	v_sub_f32_e32 v10, v10, v14
	v_add_f32_e32 v10, v10, v13
	v_exp_f32_e32 v13, v10
	v_cvt_i32_f32_e32 v14, v14
	v_cmp_ngt_f32_e64 s[0:1], s3, v5
	v_cndmask_b32_e64 v9, 0, v9, s[0:1]
	v_cmp_nlt_f32_e64 s[0:1], s4, v5
	v_cndmask_b32_e64 v10, v15, v9, s[0:1]
	v_ldexp_f32 v5, v13, v14
	v_cmp_ngt_f32_e64 s[0:1], s3, v12
	v_cndmask_b32_e64 v5, 0, v5, s[0:1]
	v_cmp_nlt_f32_e64 s[0:1], s4, v12
	v_cndmask_b32_e64 v5, v15, v5, s[0:1]
	ds_bpermute_b32 v9, v7, v10
	ds_bpermute_b32 v7, v7, v5
	s_waitcnt lgkmcnt(1)
	v_add_f32_e32 v9, v10, v9
	s_waitcnt lgkmcnt(0)
	v_add_f32_e32 v7, v5, v7
	ds_bpermute_b32 v12, v11, v9
	ds_bpermute_b32 v13, v11, v7
	s_waitcnt lgkmcnt(1)
	v_add_f32_e32 v11, v9, v12
	s_waitcnt lgkmcnt(0)
	v_add_f32_e32 v7, v7, v13
	ds_bpermute_b32 v12, v1, v11
	ds_bpermute_b32 v9, v1, v7
	s_and_saveexec_b64 s[0:1], vcc
	s_cbranch_execz .LBB14_17
; %bb.13:
	v_mov_b32_e32 v13, s9
	v_add_co_u32_e32 v1, vcc, s8, v2
	v_addc_co_u32_e32 v2, vcc, v13, v3, vcc
	v_cmp_le_i32_e64 s[0:1], s14, v0
	v_cmp_gt_i32_e32 vcc, s14, v0
	s_and_saveexec_b64 s[4:5], vcc
	s_cbranch_execz .LBB14_15
; %bb.14:
	s_waitcnt lgkmcnt(1)
	v_add_f32_e32 v0, v11, v12
	v_div_scale_f32 v3, s[2:3], v0, v0, v10
	v_div_scale_f32 v11, vcc, v10, v0, v10
	s_mov_b32 s2, 0xc61c4000
	s_movk_i32 s3, 0x7fff
	v_rcp_f32_e32 v12, v3
	v_fma_f32 v13, -v3, v12, 1.0
	v_fmac_f32_e32 v12, v13, v12
	v_mul_f32_e32 v13, v11, v12
	v_fma_f32 v14, -v3, v13, v11
	v_fmac_f32_e32 v13, v14, v12
	v_fma_f32 v3, -v3, v13, v11
	v_div_fmas_f32 v3, v3, v12, v13
	v_cmp_neq_f32_e32 vcc, s2, v6
	v_mov_b32_e32 v11, 0
	v_div_fixup_f32 v0, v3, v0, v10
	v_bfe_u32 v3, v0, 16, 1
	v_or_b32_e32 v6, 0x400000, v0
	v_add3_u32 v3, v3, v0, s3
	v_cmp_u_f32_e64 s[2:3], v0, v0
	v_cndmask_b32_e64 v0, v3, v6, s[2:3]
	v_cndmask_b32_sdwa v0, v11, v0, vcc dst_sel:DWORD dst_unused:UNUSED_PAD src0_sel:DWORD src1_sel:WORD_1
	global_store_short v[1:2], v0, off
.LBB14_15:
	s_or_b64 exec, exec, s[4:5]
	v_cmp_ne_u32_e32 vcc, 1, v8
	s_xor_b64 s[0:1], s[0:1], -1
	s_and_b64 s[0:1], vcc, s[0:1]
	s_and_saveexec_b64 s[2:3], s[0:1]
	s_xor_b64 s[2:3], exec, s[2:3]
	s_cbranch_execz .LBB14_17
; %bb.16:
	s_waitcnt lgkmcnt(0)
	v_add_f32_e32 v3, v7, v9
	v_div_scale_f32 v0, s[0:1], v3, v3, v5
	v_div_scale_f32 v6, vcc, v5, v3, v5
	s_mov_b32 s0, 0xc61c4000
	s_mov_b32 s15, 0
	s_movk_i32 s2, 0x7fff
	v_rcp_f32_e32 v7, v0
	v_fma_f32 v8, -v0, v7, 1.0
	v_fmac_f32_e32 v7, v8, v7
	v_mul_f32_e32 v8, v6, v7
	v_fma_f32 v9, -v0, v8, v6
	v_fmac_f32_e32 v8, v9, v7
	v_fma_f32 v0, -v0, v8, v6
	v_div_fmas_f32 v6, v0, v7, v8
	v_cmp_neq_f32_e32 vcc, s0, v4
	s_lshl_b64 s[0:1], s[14:15], 1
	v_mov_b32_e32 v4, s1
	v_add_co_u32_e64 v0, s[0:1], s0, v1
	v_addc_co_u32_e64 v1, s[0:1], v2, v4, s[0:1]
	v_mov_b32_e32 v7, 0
	v_div_fixup_f32 v2, v6, v3, v5
	v_bfe_u32 v3, v2, 16, 1
	v_or_b32_e32 v4, 0x400000, v2
	v_add3_u32 v3, v3, v2, s2
	v_cmp_u_f32_e64 s[0:1], v2, v2
	v_cndmask_b32_e64 v2, v3, v4, s[0:1]
	v_cndmask_b32_sdwa v2, v7, v2, vcc dst_sel:DWORD dst_unused:UNUSED_PAD src0_sel:DWORD src1_sel:WORD_1
	global_store_short v[0:1], v2, off
.LBB14_17:
	s_endpgm
	.section	.rodata,"a",@progbits
	.p2align	6, 0x0
	.amdhsa_kernel _Z34scaled_masked_softmax_warp_forwardI14__hip_bfloat16S0_fLi3EEvPT0_PKT_PKhT1_iii
		.amdhsa_group_segment_fixed_size 0
		.amdhsa_private_segment_fixed_size 0
		.amdhsa_kernarg_size 296
		.amdhsa_user_sgpr_count 6
		.amdhsa_user_sgpr_private_segment_buffer 1
		.amdhsa_user_sgpr_dispatch_ptr 0
		.amdhsa_user_sgpr_queue_ptr 0
		.amdhsa_user_sgpr_kernarg_segment_ptr 1
		.amdhsa_user_sgpr_dispatch_id 0
		.amdhsa_user_sgpr_flat_scratch_init 0
		.amdhsa_user_sgpr_private_segment_size 0
		.amdhsa_uses_dynamic_stack 0
		.amdhsa_system_sgpr_private_segment_wavefront_offset 0
		.amdhsa_system_sgpr_workgroup_id_x 1
		.amdhsa_system_sgpr_workgroup_id_y 1
		.amdhsa_system_sgpr_workgroup_id_z 1
		.amdhsa_system_sgpr_workgroup_info 0
		.amdhsa_system_vgpr_workitem_id 1
		.amdhsa_next_free_vgpr 16
		.amdhsa_next_free_sgpr 17
		.amdhsa_reserve_vcc 1
		.amdhsa_reserve_flat_scratch 0
		.amdhsa_float_round_mode_32 0
		.amdhsa_float_round_mode_16_64 0
		.amdhsa_float_denorm_mode_32 3
		.amdhsa_float_denorm_mode_16_64 3
		.amdhsa_dx10_clamp 1
		.amdhsa_ieee_mode 1
		.amdhsa_fp16_overflow 0
		.amdhsa_exception_fp_ieee_invalid_op 0
		.amdhsa_exception_fp_denorm_src 0
		.amdhsa_exception_fp_ieee_div_zero 0
		.amdhsa_exception_fp_ieee_overflow 0
		.amdhsa_exception_fp_ieee_underflow 0
		.amdhsa_exception_fp_ieee_inexact 0
		.amdhsa_exception_int_div_zero 0
	.end_amdhsa_kernel
	.section	.text._Z34scaled_masked_softmax_warp_forwardI14__hip_bfloat16S0_fLi3EEvPT0_PKT_PKhT1_iii,"axG",@progbits,_Z34scaled_masked_softmax_warp_forwardI14__hip_bfloat16S0_fLi3EEvPT0_PKT_PKhT1_iii,comdat
.Lfunc_end14:
	.size	_Z34scaled_masked_softmax_warp_forwardI14__hip_bfloat16S0_fLi3EEvPT0_PKT_PKhT1_iii, .Lfunc_end14-_Z34scaled_masked_softmax_warp_forwardI14__hip_bfloat16S0_fLi3EEvPT0_PKT_PKhT1_iii
                                        ; -- End function
	.set _Z34scaled_masked_softmax_warp_forwardI14__hip_bfloat16S0_fLi3EEvPT0_PKT_PKhT1_iii.num_vgpr, 16
	.set _Z34scaled_masked_softmax_warp_forwardI14__hip_bfloat16S0_fLi3EEvPT0_PKT_PKhT1_iii.num_agpr, 0
	.set _Z34scaled_masked_softmax_warp_forwardI14__hip_bfloat16S0_fLi3EEvPT0_PKT_PKhT1_iii.numbered_sgpr, 17
	.set _Z34scaled_masked_softmax_warp_forwardI14__hip_bfloat16S0_fLi3EEvPT0_PKT_PKhT1_iii.num_named_barrier, 0
	.set _Z34scaled_masked_softmax_warp_forwardI14__hip_bfloat16S0_fLi3EEvPT0_PKT_PKhT1_iii.private_seg_size, 0
	.set _Z34scaled_masked_softmax_warp_forwardI14__hip_bfloat16S0_fLi3EEvPT0_PKT_PKhT1_iii.uses_vcc, 1
	.set _Z34scaled_masked_softmax_warp_forwardI14__hip_bfloat16S0_fLi3EEvPT0_PKT_PKhT1_iii.uses_flat_scratch, 0
	.set _Z34scaled_masked_softmax_warp_forwardI14__hip_bfloat16S0_fLi3EEvPT0_PKT_PKhT1_iii.has_dyn_sized_stack, 0
	.set _Z34scaled_masked_softmax_warp_forwardI14__hip_bfloat16S0_fLi3EEvPT0_PKT_PKhT1_iii.has_recursion, 0
	.set _Z34scaled_masked_softmax_warp_forwardI14__hip_bfloat16S0_fLi3EEvPT0_PKT_PKhT1_iii.has_indirect_call, 0
	.section	.AMDGPU.csdata,"",@progbits
; Kernel info:
; codeLenInByte = 1440
; TotalNumSgprs: 21
; NumVgprs: 16
; ScratchSize: 0
; MemoryBound: 0
; FloatMode: 240
; IeeeMode: 1
; LDSByteSize: 0 bytes/workgroup (compile time only)
; SGPRBlocks: 2
; VGPRBlocks: 3
; NumSGPRsForWavesPerEU: 21
; NumVGPRsForWavesPerEU: 16
; Occupancy: 10
; WaveLimiterHint : 0
; COMPUTE_PGM_RSRC2:SCRATCH_EN: 0
; COMPUTE_PGM_RSRC2:USER_SGPR: 6
; COMPUTE_PGM_RSRC2:TRAP_HANDLER: 0
; COMPUTE_PGM_RSRC2:TGID_X_EN: 1
; COMPUTE_PGM_RSRC2:TGID_Y_EN: 1
; COMPUTE_PGM_RSRC2:TGID_Z_EN: 1
; COMPUTE_PGM_RSRC2:TIDIG_COMP_CNT: 1
	.section	.text._Z34scaled_masked_softmax_warp_forwardI14__hip_bfloat16S0_fLi4EEvPT0_PKT_PKhT1_iii,"axG",@progbits,_Z34scaled_masked_softmax_warp_forwardI14__hip_bfloat16S0_fLi4EEvPT0_PKT_PKhT1_iii,comdat
	.protected	_Z34scaled_masked_softmax_warp_forwardI14__hip_bfloat16S0_fLi4EEvPT0_PKT_PKhT1_iii ; -- Begin function _Z34scaled_masked_softmax_warp_forwardI14__hip_bfloat16S0_fLi4EEvPT0_PKT_PKhT1_iii
	.globl	_Z34scaled_masked_softmax_warp_forwardI14__hip_bfloat16S0_fLi4EEvPT0_PKT_PKhT1_iii
	.p2align	8
	.type	_Z34scaled_masked_softmax_warp_forwardI14__hip_bfloat16S0_fLi4EEvPT0_PKT_PKhT1_iii,@function
_Z34scaled_masked_softmax_warp_forwardI14__hip_bfloat16S0_fLi4EEvPT0_PKT_PKhT1_iii: ; @_Z34scaled_masked_softmax_warp_forwardI14__hip_bfloat16S0_fLi4EEvPT0_PKT_PKhT1_iii
; %bb.0:
	s_load_dword s2, s[4:5], 0x34
	s_load_dwordx4 s[12:15], s[4:5], 0x18
	s_load_dwordx2 s[0:1], s[4:5], 0x28
	s_waitcnt lgkmcnt(0)
	s_lshr_b32 s2, s2, 16
	s_cmp_eq_u32 s15, 1
	s_mov_b32 s15, s6
	s_cbranch_scc1 .LBB15_2
; %bb.1:
	s_mul_i32 s3, s0, s8
	s_add_i32 s15, s3, s6
.LBB15_2:
	s_mul_i32 s1, s1, s8
	s_add_i32 s1, s1, s7
	s_mul_i32 s0, s0, s1
	s_and_b32 s16, 0xffff, s2
	s_add_i32 s0, s0, s6
	s_mul_i32 s0, s0, s16
	v_add_lshl_u32 v4, s0, v1, 1
	v_mad_u64_u32 v[2:3], s[0:1], v4, s14, v[0:1]
	s_load_dwordx4 s[8:11], s[4:5], 0x0
	s_load_dwordx2 s[2:3], s[4:5], 0x10
	v_sub_u32_e32 v8, s13, v4
	v_ashrrev_i32_e32 v3, 31, v2
	v_lshlrev_b64 v[2:3], 1, v[2:3]
	v_cmp_lt_i32_e32 vcc, 0, v8
	v_mov_b32_e32 v10, 0
	v_mov_b32_e32 v9, 0
	s_and_saveexec_b64 s[4:5], vcc
	s_cbranch_execz .LBB15_12
; %bb.3:
	s_mul_i32 s0, s15, s16
	v_add_u32_e32 v1, s0, v1
	v_mul_lo_u32 v1, s14, v1
	s_waitcnt lgkmcnt(0)
	v_mov_b32_e32 v4, s11
	v_add_co_u32_e64 v6, s[0:1], s10, v2
	v_addc_co_u32_e64 v7, s[0:1], v4, v3, s[0:1]
	v_lshl_add_u32 v1, v1, 1, v0
	v_ashrrev_i32_e32 v5, 31, v1
	v_mov_b32_e32 v9, s3
	v_add_co_u32_e64 v4, s[0:1], s2, v1
	v_addc_co_u32_e64 v5, s[0:1], v9, v5, s[0:1]
	v_cmp_le_i32_e64 s[0:1], s14, v0
	v_cmp_gt_i32_e64 s[2:3], s14, v0
	v_mov_b32_e32 v10, 0
	v_mov_b32_e32 v9, 0xff800000
	s_and_saveexec_b64 s[6:7], s[2:3]
	s_cbranch_execz .LBB15_5
; %bb.4:
	global_load_ushort v1, v[6:7], off
	global_load_ubyte v9, v[4:5], off
	v_mov_b32_e32 v11, 0xc61c4000
	s_waitcnt vmcnt(1)
	v_lshlrev_b32_e32 v1, 16, v1
	v_mul_f32_e32 v1, s12, v1
	s_waitcnt vmcnt(0)
	v_cmp_ne_u16_e64 s[2:3], 1, v9
	v_cndmask_b32_e64 v9, v11, v1, s[2:3]
.LBB15_5:
	s_or_b64 exec, exec, s[6:7]
	v_cmp_ne_u32_e64 s[2:3], 1, v8
	s_and_saveexec_b64 s[6:7], s[2:3]
	s_xor_b64 s[2:3], exec, s[6:7]
	s_cbranch_execz .LBB15_11
; %bb.6:
	s_and_saveexec_b64 s[6:7], s[0:1]
	s_xor_b64 s[0:1], exec, s[6:7]
; %bb.7:
                                        ; implicit-def: $vgpr4
                                        ; implicit-def: $vgpr6
; %bb.8:
	s_or_saveexec_b64 s[6:7], s[0:1]
	v_mov_b32_e32 v10, 0xff800000
	s_xor_b64 exec, exec, s[6:7]
	s_cbranch_execz .LBB15_10
; %bb.9:
	s_mov_b32 s15, 0
	s_lshl_b64 s[0:1], s[14:15], 1
	v_mov_b32_e32 v1, s1
	v_add_co_u32_e64 v6, s[0:1], s0, v6
	v_addc_co_u32_e64 v7, s[0:1], v7, v1, s[0:1]
	v_add_co_u32_e64 v4, s[0:1], s14, v4
	global_load_ushort v1, v[6:7], off
	v_addc_co_u32_e64 v5, s[0:1], 0, v5, s[0:1]
	global_load_ubyte v4, v[4:5], off
	v_mov_b32_e32 v5, 0xc61c4000
	s_waitcnt vmcnt(1)
	v_lshlrev_b32_e32 v1, 16, v1
	v_mul_f32_e32 v1, s12, v1
	s_waitcnt vmcnt(0)
	v_cmp_eq_u16_e64 s[0:1], 1, v4
	v_cndmask_b32_e64 v10, v1, v5, s[0:1]
.LBB15_10:
	s_or_b64 exec, exec, s[6:7]
.LBB15_11:
	s_or_b64 exec, exec, s[2:3]
.LBB15_12:
	s_or_b64 exec, exec, s[4:5]
	v_mbcnt_lo_u32_b32 v1, -1, 0
	v_mbcnt_hi_u32_b32 v1, -1, v1
	v_and_b32_e32 v4, 0x70, v1
	v_add_u32_e32 v4, 16, v4
	v_xor_b32_e32 v5, 8, v1
	v_cmp_lt_i32_e64 s[0:1], v5, v4
	v_cndmask_b32_e64 v5, v1, v5, s[0:1]
	v_lshlrev_b32_e32 v7, 2, v5
	ds_bpermute_b32 v5, v7, v9
	v_xor_b32_e32 v11, 4, v1
	ds_bpermute_b32 v6, v7, v10
	v_xor_b32_e32 v13, 2, v1
	s_waitcnt lgkmcnt(0)
	s_mov_b32 s2, 0x3fb8aa3b
	v_cmp_lt_f32_e64 s[0:1], v9, v5
	v_cndmask_b32_e64 v5, v9, v5, s[0:1]
	v_cmp_lt_i32_e64 s[0:1], v11, v4
	v_cndmask_b32_e64 v11, v1, v11, s[0:1]
	v_lshlrev_b32_e32 v11, 2, v11
	ds_bpermute_b32 v12, v11, v5
	v_cmp_lt_f32_e64 s[0:1], v10, v6
	v_cndmask_b32_e64 v6, v10, v6, s[0:1]
	s_mov_b32 s3, 0xc2ce8ed0
	s_mov_b32 s4, 0x42b17218
	s_waitcnt lgkmcnt(0)
	v_cmp_lt_f32_e64 s[0:1], v5, v12
	v_cndmask_b32_e64 v5, v5, v12, s[0:1]
	v_cmp_lt_i32_e64 s[0:1], v13, v4
	v_cndmask_b32_e64 v13, v1, v13, s[0:1]
	ds_bpermute_b32 v12, v11, v6
	v_lshlrev_b32_e32 v13, 2, v13
	ds_bpermute_b32 v14, v13, v5
	v_mov_b32_e32 v16, 0x7f800000
	s_waitcnt lgkmcnt(1)
	v_cmp_lt_f32_e64 s[0:1], v6, v12
	v_cndmask_b32_e64 v6, v6, v12, s[0:1]
	s_waitcnt lgkmcnt(0)
	v_cmp_lt_f32_e64 s[0:1], v5, v14
	v_cndmask_b32_e64 v5, v5, v14, s[0:1]
	v_xor_b32_e32 v14, 1, v1
	v_cmp_lt_i32_e64 s[0:1], v14, v4
	v_cndmask_b32_e64 v1, v1, v14, s[0:1]
	ds_bpermute_b32 v12, v13, v6
	v_lshlrev_b32_e32 v1, 2, v1
	ds_bpermute_b32 v4, v1, v5
	s_waitcnt lgkmcnt(1)
	v_cmp_lt_f32_e64 s[0:1], v6, v12
	v_cndmask_b32_e64 v12, v6, v12, s[0:1]
	s_waitcnt lgkmcnt(0)
	v_cmp_lt_f32_e64 s[0:1], v5, v4
	v_cndmask_b32_e64 v6, v5, v4, s[0:1]
	ds_bpermute_b32 v4, v1, v12
	v_sub_f32_e32 v5, v9, v6
	v_mul_f32_e32 v9, 0x3fb8aa3b, v5
	v_fma_f32 v14, v5, s2, -v9
	v_rndne_f32_e32 v15, v9
	v_fmac_f32_e32 v14, 0x32a5705f, v5
	v_sub_f32_e32 v9, v9, v15
	v_add_f32_e32 v9, v9, v14
	v_exp_f32_e32 v9, v9
	v_cvt_i32_f32_e32 v14, v15
	s_waitcnt lgkmcnt(0)
	v_cmp_lt_f32_e64 s[0:1], v12, v4
	v_cndmask_b32_e64 v4, v12, v4, s[0:1]
	v_sub_f32_e32 v12, v10, v4
	v_mul_f32_e32 v10, 0x3fb8aa3b, v12
	v_ldexp_f32 v9, v9, v14
	v_fma_f32 v14, v12, s2, -v10
	v_rndne_f32_e32 v15, v10
	v_fmac_f32_e32 v14, 0x32a5705f, v12
	v_sub_f32_e32 v10, v10, v15
	v_add_f32_e32 v10, v10, v14
	v_exp_f32_e32 v14, v10
	v_cvt_i32_f32_e32 v15, v15
	v_cmp_ngt_f32_e64 s[0:1], s3, v5
	v_cndmask_b32_e64 v9, 0, v9, s[0:1]
	v_cmp_nlt_f32_e64 s[0:1], s4, v5
	v_cndmask_b32_e64 v10, v16, v9, s[0:1]
	v_ldexp_f32 v5, v14, v15
	v_cmp_ngt_f32_e64 s[0:1], s3, v12
	v_cndmask_b32_e64 v5, 0, v5, s[0:1]
	v_cmp_nlt_f32_e64 s[0:1], s4, v12
	v_cndmask_b32_e64 v5, v16, v5, s[0:1]
	ds_bpermute_b32 v9, v7, v10
	ds_bpermute_b32 v7, v7, v5
	s_waitcnt lgkmcnt(1)
	v_add_f32_e32 v9, v10, v9
	s_waitcnt lgkmcnt(0)
	v_add_f32_e32 v7, v5, v7
	ds_bpermute_b32 v12, v11, v9
	ds_bpermute_b32 v11, v11, v7
	s_waitcnt lgkmcnt(1)
	v_add_f32_e32 v9, v9, v12
	s_waitcnt lgkmcnt(0)
	v_add_f32_e32 v7, v7, v11
	;; [unrolled: 6-line block ×3, first 2 shown]
	ds_bpermute_b32 v12, v1, v11
	ds_bpermute_b32 v9, v1, v7
	s_and_saveexec_b64 s[0:1], vcc
	s_cbranch_execz .LBB15_17
; %bb.13:
	v_mov_b32_e32 v13, s9
	v_add_co_u32_e32 v1, vcc, s8, v2
	v_addc_co_u32_e32 v2, vcc, v13, v3, vcc
	v_cmp_le_i32_e64 s[0:1], s14, v0
	v_cmp_gt_i32_e32 vcc, s14, v0
	s_and_saveexec_b64 s[4:5], vcc
	s_cbranch_execz .LBB15_15
; %bb.14:
	s_waitcnt lgkmcnt(1)
	v_add_f32_e32 v0, v11, v12
	v_div_scale_f32 v3, s[2:3], v0, v0, v10
	v_div_scale_f32 v11, vcc, v10, v0, v10
	s_mov_b32 s2, 0xc61c4000
	s_movk_i32 s3, 0x7fff
	v_rcp_f32_e32 v12, v3
	v_fma_f32 v13, -v3, v12, 1.0
	v_fmac_f32_e32 v12, v13, v12
	v_mul_f32_e32 v13, v11, v12
	v_fma_f32 v14, -v3, v13, v11
	v_fmac_f32_e32 v13, v14, v12
	v_fma_f32 v3, -v3, v13, v11
	v_div_fmas_f32 v3, v3, v12, v13
	v_cmp_neq_f32_e32 vcc, s2, v6
	v_mov_b32_e32 v11, 0
	v_div_fixup_f32 v0, v3, v0, v10
	v_bfe_u32 v3, v0, 16, 1
	v_or_b32_e32 v6, 0x400000, v0
	v_add3_u32 v3, v3, v0, s3
	v_cmp_u_f32_e64 s[2:3], v0, v0
	v_cndmask_b32_e64 v0, v3, v6, s[2:3]
	v_cndmask_b32_sdwa v0, v11, v0, vcc dst_sel:DWORD dst_unused:UNUSED_PAD src0_sel:DWORD src1_sel:WORD_1
	global_store_short v[1:2], v0, off
.LBB15_15:
	s_or_b64 exec, exec, s[4:5]
	v_cmp_ne_u32_e32 vcc, 1, v8
	s_xor_b64 s[0:1], s[0:1], -1
	s_and_b64 s[0:1], vcc, s[0:1]
	s_and_saveexec_b64 s[2:3], s[0:1]
	s_xor_b64 s[2:3], exec, s[2:3]
	s_cbranch_execz .LBB15_17
; %bb.16:
	s_waitcnt lgkmcnt(0)
	v_add_f32_e32 v3, v7, v9
	v_div_scale_f32 v0, s[0:1], v3, v3, v5
	v_div_scale_f32 v6, vcc, v5, v3, v5
	s_mov_b32 s0, 0xc61c4000
	s_mov_b32 s15, 0
	s_movk_i32 s2, 0x7fff
	v_rcp_f32_e32 v7, v0
	v_fma_f32 v8, -v0, v7, 1.0
	v_fmac_f32_e32 v7, v8, v7
	v_mul_f32_e32 v8, v6, v7
	v_fma_f32 v9, -v0, v8, v6
	v_fmac_f32_e32 v8, v9, v7
	v_fma_f32 v0, -v0, v8, v6
	v_div_fmas_f32 v6, v0, v7, v8
	v_cmp_neq_f32_e32 vcc, s0, v4
	s_lshl_b64 s[0:1], s[14:15], 1
	v_mov_b32_e32 v4, s1
	v_add_co_u32_e64 v0, s[0:1], s0, v1
	v_addc_co_u32_e64 v1, s[0:1], v2, v4, s[0:1]
	v_mov_b32_e32 v7, 0
	v_div_fixup_f32 v2, v6, v3, v5
	v_bfe_u32 v3, v2, 16, 1
	v_or_b32_e32 v4, 0x400000, v2
	v_add3_u32 v3, v3, v2, s2
	v_cmp_u_f32_e64 s[0:1], v2, v2
	v_cndmask_b32_e64 v2, v3, v4, s[0:1]
	v_cndmask_b32_sdwa v2, v7, v2, vcc dst_sel:DWORD dst_unused:UNUSED_PAD src0_sel:DWORD src1_sel:WORD_1
	global_store_short v[0:1], v2, off
.LBB15_17:
	s_endpgm
	.section	.rodata,"a",@progbits
	.p2align	6, 0x0
	.amdhsa_kernel _Z34scaled_masked_softmax_warp_forwardI14__hip_bfloat16S0_fLi4EEvPT0_PKT_PKhT1_iii
		.amdhsa_group_segment_fixed_size 0
		.amdhsa_private_segment_fixed_size 0
		.amdhsa_kernarg_size 296
		.amdhsa_user_sgpr_count 6
		.amdhsa_user_sgpr_private_segment_buffer 1
		.amdhsa_user_sgpr_dispatch_ptr 0
		.amdhsa_user_sgpr_queue_ptr 0
		.amdhsa_user_sgpr_kernarg_segment_ptr 1
		.amdhsa_user_sgpr_dispatch_id 0
		.amdhsa_user_sgpr_flat_scratch_init 0
		.amdhsa_user_sgpr_private_segment_size 0
		.amdhsa_uses_dynamic_stack 0
		.amdhsa_system_sgpr_private_segment_wavefront_offset 0
		.amdhsa_system_sgpr_workgroup_id_x 1
		.amdhsa_system_sgpr_workgroup_id_y 1
		.amdhsa_system_sgpr_workgroup_id_z 1
		.amdhsa_system_sgpr_workgroup_info 0
		.amdhsa_system_vgpr_workitem_id 1
		.amdhsa_next_free_vgpr 17
		.amdhsa_next_free_sgpr 17
		.amdhsa_reserve_vcc 1
		.amdhsa_reserve_flat_scratch 0
		.amdhsa_float_round_mode_32 0
		.amdhsa_float_round_mode_16_64 0
		.amdhsa_float_denorm_mode_32 3
		.amdhsa_float_denorm_mode_16_64 3
		.amdhsa_dx10_clamp 1
		.amdhsa_ieee_mode 1
		.amdhsa_fp16_overflow 0
		.amdhsa_exception_fp_ieee_invalid_op 0
		.amdhsa_exception_fp_denorm_src 0
		.amdhsa_exception_fp_ieee_div_zero 0
		.amdhsa_exception_fp_ieee_overflow 0
		.amdhsa_exception_fp_ieee_underflow 0
		.amdhsa_exception_fp_ieee_inexact 0
		.amdhsa_exception_int_div_zero 0
	.end_amdhsa_kernel
	.section	.text._Z34scaled_masked_softmax_warp_forwardI14__hip_bfloat16S0_fLi4EEvPT0_PKT_PKhT1_iii,"axG",@progbits,_Z34scaled_masked_softmax_warp_forwardI14__hip_bfloat16S0_fLi4EEvPT0_PKT_PKhT1_iii,comdat
.Lfunc_end15:
	.size	_Z34scaled_masked_softmax_warp_forwardI14__hip_bfloat16S0_fLi4EEvPT0_PKT_PKhT1_iii, .Lfunc_end15-_Z34scaled_masked_softmax_warp_forwardI14__hip_bfloat16S0_fLi4EEvPT0_PKT_PKhT1_iii
                                        ; -- End function
	.set _Z34scaled_masked_softmax_warp_forwardI14__hip_bfloat16S0_fLi4EEvPT0_PKT_PKhT1_iii.num_vgpr, 17
	.set _Z34scaled_masked_softmax_warp_forwardI14__hip_bfloat16S0_fLi4EEvPT0_PKT_PKhT1_iii.num_agpr, 0
	.set _Z34scaled_masked_softmax_warp_forwardI14__hip_bfloat16S0_fLi4EEvPT0_PKT_PKhT1_iii.numbered_sgpr, 17
	.set _Z34scaled_masked_softmax_warp_forwardI14__hip_bfloat16S0_fLi4EEvPT0_PKT_PKhT1_iii.num_named_barrier, 0
	.set _Z34scaled_masked_softmax_warp_forwardI14__hip_bfloat16S0_fLi4EEvPT0_PKT_PKhT1_iii.private_seg_size, 0
	.set _Z34scaled_masked_softmax_warp_forwardI14__hip_bfloat16S0_fLi4EEvPT0_PKT_PKhT1_iii.uses_vcc, 1
	.set _Z34scaled_masked_softmax_warp_forwardI14__hip_bfloat16S0_fLi4EEvPT0_PKT_PKhT1_iii.uses_flat_scratch, 0
	.set _Z34scaled_masked_softmax_warp_forwardI14__hip_bfloat16S0_fLi4EEvPT0_PKT_PKhT1_iii.has_dyn_sized_stack, 0
	.set _Z34scaled_masked_softmax_warp_forwardI14__hip_bfloat16S0_fLi4EEvPT0_PKT_PKhT1_iii.has_recursion, 0
	.set _Z34scaled_masked_softmax_warp_forwardI14__hip_bfloat16S0_fLi4EEvPT0_PKT_PKhT1_iii.has_indirect_call, 0
	.section	.AMDGPU.csdata,"",@progbits
; Kernel info:
; codeLenInByte = 1552
; TotalNumSgprs: 21
; NumVgprs: 17
; ScratchSize: 0
; MemoryBound: 0
; FloatMode: 240
; IeeeMode: 1
; LDSByteSize: 0 bytes/workgroup (compile time only)
; SGPRBlocks: 2
; VGPRBlocks: 4
; NumSGPRsForWavesPerEU: 21
; NumVGPRsForWavesPerEU: 17
; Occupancy: 10
; WaveLimiterHint : 0
; COMPUTE_PGM_RSRC2:SCRATCH_EN: 0
; COMPUTE_PGM_RSRC2:USER_SGPR: 6
; COMPUTE_PGM_RSRC2:TRAP_HANDLER: 0
; COMPUTE_PGM_RSRC2:TGID_X_EN: 1
; COMPUTE_PGM_RSRC2:TGID_Y_EN: 1
; COMPUTE_PGM_RSRC2:TGID_Z_EN: 1
; COMPUTE_PGM_RSRC2:TIDIG_COMP_CNT: 1
	.section	.text._Z34scaled_masked_softmax_warp_forwardI14__hip_bfloat16S0_fLi5EEvPT0_PKT_PKhT1_iii,"axG",@progbits,_Z34scaled_masked_softmax_warp_forwardI14__hip_bfloat16S0_fLi5EEvPT0_PKT_PKhT1_iii,comdat
	.protected	_Z34scaled_masked_softmax_warp_forwardI14__hip_bfloat16S0_fLi5EEvPT0_PKT_PKhT1_iii ; -- Begin function _Z34scaled_masked_softmax_warp_forwardI14__hip_bfloat16S0_fLi5EEvPT0_PKT_PKhT1_iii
	.globl	_Z34scaled_masked_softmax_warp_forwardI14__hip_bfloat16S0_fLi5EEvPT0_PKT_PKhT1_iii
	.p2align	8
	.type	_Z34scaled_masked_softmax_warp_forwardI14__hip_bfloat16S0_fLi5EEvPT0_PKT_PKhT1_iii,@function
_Z34scaled_masked_softmax_warp_forwardI14__hip_bfloat16S0_fLi5EEvPT0_PKT_PKhT1_iii: ; @_Z34scaled_masked_softmax_warp_forwardI14__hip_bfloat16S0_fLi5EEvPT0_PKT_PKhT1_iii
; %bb.0:
	s_load_dword s2, s[4:5], 0x34
	s_load_dwordx4 s[12:15], s[4:5], 0x18
	s_load_dwordx2 s[0:1], s[4:5], 0x28
	s_waitcnt lgkmcnt(0)
	s_lshr_b32 s2, s2, 16
	s_cmp_eq_u32 s15, 1
	s_mov_b32 s15, s6
	s_cbranch_scc1 .LBB16_2
; %bb.1:
	s_mul_i32 s3, s0, s8
	s_add_i32 s15, s3, s6
.LBB16_2:
	s_mul_i32 s1, s1, s8
	s_add_i32 s1, s1, s7
	s_mul_i32 s0, s0, s1
	s_and_b32 s16, 0xffff, s2
	s_add_i32 s0, s0, s6
	s_mul_i32 s0, s0, s16
	v_add_lshl_u32 v4, s0, v1, 1
	v_mad_u64_u32 v[2:3], s[0:1], v4, s14, v[0:1]
	s_load_dwordx4 s[8:11], s[4:5], 0x0
	s_load_dwordx2 s[2:3], s[4:5], 0x10
	v_sub_u32_e32 v8, s13, v4
	v_ashrrev_i32_e32 v3, 31, v2
	v_lshlrev_b64 v[2:3], 1, v[2:3]
	v_cmp_lt_i32_e32 vcc, 0, v8
	v_mov_b32_e32 v10, 0
	v_mov_b32_e32 v9, 0
	s_and_saveexec_b64 s[4:5], vcc
	s_cbranch_execz .LBB16_12
; %bb.3:
	s_mul_i32 s0, s15, s16
	v_add_u32_e32 v1, s0, v1
	v_mul_lo_u32 v1, s14, v1
	s_waitcnt lgkmcnt(0)
	v_mov_b32_e32 v4, s11
	v_add_co_u32_e64 v6, s[0:1], s10, v2
	v_addc_co_u32_e64 v7, s[0:1], v4, v3, s[0:1]
	v_lshl_add_u32 v1, v1, 1, v0
	v_ashrrev_i32_e32 v5, 31, v1
	v_mov_b32_e32 v9, s3
	v_add_co_u32_e64 v4, s[0:1], s2, v1
	v_addc_co_u32_e64 v5, s[0:1], v9, v5, s[0:1]
	v_cmp_le_i32_e64 s[0:1], s14, v0
	v_cmp_gt_i32_e64 s[2:3], s14, v0
	v_mov_b32_e32 v10, 0
	v_mov_b32_e32 v9, 0xff800000
	s_and_saveexec_b64 s[6:7], s[2:3]
	s_cbranch_execz .LBB16_5
; %bb.4:
	global_load_ushort v1, v[6:7], off
	global_load_ubyte v9, v[4:5], off
	v_mov_b32_e32 v11, 0xc61c4000
	s_waitcnt vmcnt(1)
	v_lshlrev_b32_e32 v1, 16, v1
	v_mul_f32_e32 v1, s12, v1
	s_waitcnt vmcnt(0)
	v_cmp_ne_u16_e64 s[2:3], 1, v9
	v_cndmask_b32_e64 v9, v11, v1, s[2:3]
.LBB16_5:
	s_or_b64 exec, exec, s[6:7]
	v_cmp_ne_u32_e64 s[2:3], 1, v8
	s_and_saveexec_b64 s[6:7], s[2:3]
	s_xor_b64 s[2:3], exec, s[6:7]
	s_cbranch_execz .LBB16_11
; %bb.6:
	s_and_saveexec_b64 s[6:7], s[0:1]
	s_xor_b64 s[0:1], exec, s[6:7]
; %bb.7:
                                        ; implicit-def: $vgpr4
                                        ; implicit-def: $vgpr6
; %bb.8:
	s_or_saveexec_b64 s[6:7], s[0:1]
	v_mov_b32_e32 v10, 0xff800000
	s_xor_b64 exec, exec, s[6:7]
	s_cbranch_execz .LBB16_10
; %bb.9:
	s_mov_b32 s15, 0
	s_lshl_b64 s[0:1], s[14:15], 1
	v_mov_b32_e32 v1, s1
	v_add_co_u32_e64 v6, s[0:1], s0, v6
	v_addc_co_u32_e64 v7, s[0:1], v7, v1, s[0:1]
	v_add_co_u32_e64 v4, s[0:1], s14, v4
	global_load_ushort v1, v[6:7], off
	v_addc_co_u32_e64 v5, s[0:1], 0, v5, s[0:1]
	global_load_ubyte v4, v[4:5], off
	v_mov_b32_e32 v5, 0xc61c4000
	s_waitcnt vmcnt(1)
	v_lshlrev_b32_e32 v1, 16, v1
	v_mul_f32_e32 v1, s12, v1
	s_waitcnt vmcnt(0)
	v_cmp_eq_u16_e64 s[0:1], 1, v4
	v_cndmask_b32_e64 v10, v1, v5, s[0:1]
.LBB16_10:
	s_or_b64 exec, exec, s[6:7]
.LBB16_11:
	s_or_b64 exec, exec, s[2:3]
.LBB16_12:
	s_or_b64 exec, exec, s[4:5]
	v_mbcnt_lo_u32_b32 v1, -1, 0
	v_mbcnt_hi_u32_b32 v1, -1, v1
	v_and_b32_e32 v4, 0x60, v1
	v_add_u32_e32 v4, 32, v4
	v_xor_b32_e32 v5, 16, v1
	v_cmp_lt_i32_e64 s[0:1], v5, v4
	v_cndmask_b32_e64 v5, v1, v5, s[0:1]
	v_lshlrev_b32_e32 v11, 2, v5
	ds_bpermute_b32 v5, v11, v9
	v_xor_b32_e32 v7, 8, v1
	ds_bpermute_b32 v6, v11, v10
	v_xor_b32_e32 v13, 4, v1
	s_waitcnt lgkmcnt(0)
	s_mov_b32 s2, 0x3fb8aa3b
	v_cmp_lt_f32_e64 s[0:1], v9, v5
	v_cndmask_b32_e64 v5, v9, v5, s[0:1]
	v_cmp_lt_i32_e64 s[0:1], v7, v4
	v_cndmask_b32_e64 v7, v1, v7, s[0:1]
	v_lshlrev_b32_e32 v12, 2, v7
	ds_bpermute_b32 v7, v12, v5
	v_cmp_lt_f32_e64 s[0:1], v10, v6
	v_cndmask_b32_e64 v6, v10, v6, s[0:1]
	s_mov_b32 s3, 0xc2ce8ed0
	s_mov_b32 s4, 0x42b17218
	s_waitcnt lgkmcnt(0)
	v_cmp_lt_f32_e64 s[0:1], v5, v7
	v_cndmask_b32_e64 v5, v5, v7, s[0:1]
	v_cmp_lt_i32_e64 s[0:1], v13, v4
	v_cndmask_b32_e64 v13, v1, v13, s[0:1]
	ds_bpermute_b32 v7, v12, v6
	v_lshlrev_b32_e32 v13, 2, v13
	ds_bpermute_b32 v14, v13, v5
	s_waitcnt lgkmcnt(1)
	v_cmp_lt_f32_e64 s[0:1], v6, v7
	v_cndmask_b32_e64 v6, v6, v7, s[0:1]
	s_waitcnt lgkmcnt(0)
	v_cmp_lt_f32_e64 s[0:1], v5, v14
	v_cndmask_b32_e64 v5, v5, v14, s[0:1]
	v_xor_b32_e32 v14, 2, v1
	v_cmp_lt_i32_e64 s[0:1], v14, v4
	v_cndmask_b32_e64 v14, v1, v14, s[0:1]
	ds_bpermute_b32 v7, v13, v6
	v_lshlrev_b32_e32 v14, 2, v14
	ds_bpermute_b32 v15, v14, v5
	s_waitcnt lgkmcnt(1)
	v_cmp_lt_f32_e64 s[0:1], v6, v7
	v_cndmask_b32_e64 v6, v6, v7, s[0:1]
	s_waitcnt lgkmcnt(0)
	v_cmp_lt_f32_e64 s[0:1], v5, v15
	v_cndmask_b32_e64 v5, v5, v15, s[0:1]
	v_xor_b32_e32 v15, 1, v1
	v_cmp_lt_i32_e64 s[0:1], v15, v4
	v_cndmask_b32_e64 v1, v1, v15, s[0:1]
	ds_bpermute_b32 v7, v14, v6
	v_lshlrev_b32_e32 v1, 2, v1
	ds_bpermute_b32 v4, v1, v5
	s_waitcnt lgkmcnt(1)
	v_cmp_lt_f32_e64 s[0:1], v6, v7
	v_cndmask_b32_e64 v7, v6, v7, s[0:1]
	s_waitcnt lgkmcnt(0)
	v_cmp_lt_f32_e64 s[0:1], v5, v4
	v_cndmask_b32_e64 v6, v5, v4, s[0:1]
	v_sub_f32_e32 v5, v9, v6
	v_mul_f32_e32 v9, 0x3fb8aa3b, v5
	ds_bpermute_b32 v4, v1, v7
	v_fma_f32 v15, v5, s2, -v9
	v_rndne_f32_e32 v16, v9
	v_fmac_f32_e32 v15, 0x32a5705f, v5
	v_sub_f32_e32 v9, v9, v16
	v_add_f32_e32 v9, v9, v15
	v_exp_f32_e32 v9, v9
	v_cvt_i32_f32_e32 v15, v16
	s_waitcnt lgkmcnt(0)
	v_cmp_lt_f32_e64 s[0:1], v7, v4
	v_cndmask_b32_e64 v4, v7, v4, s[0:1]
	v_cmp_ngt_f32_e64 s[0:1], s3, v5
	v_ldexp_f32 v7, v9, v15
	v_sub_f32_e32 v9, v10, v4
	v_mul_f32_e32 v10, 0x3fb8aa3b, v9
	v_fma_f32 v15, v9, s2, -v10
	v_rndne_f32_e32 v16, v10
	v_fmac_f32_e32 v15, 0x32a5705f, v9
	v_sub_f32_e32 v10, v10, v16
	v_add_f32_e32 v10, v10, v15
	v_exp_f32_e32 v10, v10
	v_cvt_i32_f32_e32 v15, v16
	v_cndmask_b32_e64 v7, 0, v7, s[0:1]
	v_mov_b32_e32 v16, 0x7f800000
	v_cmp_nlt_f32_e64 s[0:1], s4, v5
	v_cndmask_b32_e64 v7, v16, v7, s[0:1]
	v_ldexp_f32 v5, v10, v15
	v_cmp_ngt_f32_e64 s[0:1], s3, v9
	v_cndmask_b32_e64 v5, 0, v5, s[0:1]
	v_cmp_nlt_f32_e64 s[0:1], s4, v9
	v_cndmask_b32_e64 v5, v16, v5, s[0:1]
	ds_bpermute_b32 v9, v11, v7
	ds_bpermute_b32 v10, v11, v5
	s_waitcnt lgkmcnt(1)
	v_add_f32_e32 v9, v7, v9
	s_waitcnt lgkmcnt(0)
	v_add_f32_e32 v10, v5, v10
	ds_bpermute_b32 v11, v12, v9
	ds_bpermute_b32 v12, v12, v10
	s_waitcnt lgkmcnt(1)
	v_add_f32_e32 v9, v9, v11
	s_waitcnt lgkmcnt(0)
	v_add_f32_e32 v10, v10, v12
	;; [unrolled: 6-line block ×4, first 2 shown]
	ds_bpermute_b32 v12, v1, v11
	ds_bpermute_b32 v10, v1, v9
	s_and_saveexec_b64 s[0:1], vcc
	s_cbranch_execz .LBB16_17
; %bb.13:
	v_mov_b32_e32 v13, s9
	v_add_co_u32_e32 v1, vcc, s8, v2
	v_addc_co_u32_e32 v2, vcc, v13, v3, vcc
	v_cmp_le_i32_e64 s[0:1], s14, v0
	v_cmp_gt_i32_e32 vcc, s14, v0
	s_and_saveexec_b64 s[4:5], vcc
	s_cbranch_execz .LBB16_15
; %bb.14:
	s_waitcnt lgkmcnt(1)
	v_add_f32_e32 v0, v11, v12
	v_div_scale_f32 v3, s[2:3], v0, v0, v7
	v_div_scale_f32 v11, vcc, v7, v0, v7
	s_mov_b32 s2, 0xc61c4000
	s_movk_i32 s3, 0x7fff
	v_rcp_f32_e32 v12, v3
	v_fma_f32 v13, -v3, v12, 1.0
	v_fmac_f32_e32 v12, v13, v12
	v_mul_f32_e32 v13, v11, v12
	v_fma_f32 v14, -v3, v13, v11
	v_fmac_f32_e32 v13, v14, v12
	v_fma_f32 v3, -v3, v13, v11
	v_div_fmas_f32 v3, v3, v12, v13
	v_cmp_neq_f32_e32 vcc, s2, v6
	v_mov_b32_e32 v11, 0
	v_div_fixup_f32 v0, v3, v0, v7
	v_bfe_u32 v3, v0, 16, 1
	v_or_b32_e32 v6, 0x400000, v0
	v_add3_u32 v3, v3, v0, s3
	v_cmp_u_f32_e64 s[2:3], v0, v0
	v_cndmask_b32_e64 v0, v3, v6, s[2:3]
	v_cndmask_b32_sdwa v0, v11, v0, vcc dst_sel:DWORD dst_unused:UNUSED_PAD src0_sel:DWORD src1_sel:WORD_1
	global_store_short v[1:2], v0, off
.LBB16_15:
	s_or_b64 exec, exec, s[4:5]
	v_cmp_ne_u32_e32 vcc, 1, v8
	s_xor_b64 s[0:1], s[0:1], -1
	s_and_b64 s[0:1], vcc, s[0:1]
	s_and_saveexec_b64 s[2:3], s[0:1]
	s_xor_b64 s[2:3], exec, s[2:3]
	s_cbranch_execz .LBB16_17
; %bb.16:
	s_waitcnt lgkmcnt(0)
	v_add_f32_e32 v3, v9, v10
	v_div_scale_f32 v0, s[0:1], v3, v3, v5
	v_div_scale_f32 v6, vcc, v5, v3, v5
	s_mov_b32 s0, 0xc61c4000
	s_mov_b32 s15, 0
	s_movk_i32 s2, 0x7fff
	v_rcp_f32_e32 v7, v0
	v_fma_f32 v8, -v0, v7, 1.0
	v_fmac_f32_e32 v7, v8, v7
	v_mul_f32_e32 v8, v6, v7
	v_fma_f32 v9, -v0, v8, v6
	v_fmac_f32_e32 v8, v9, v7
	v_fma_f32 v0, -v0, v8, v6
	v_div_fmas_f32 v6, v0, v7, v8
	v_cmp_neq_f32_e32 vcc, s0, v4
	s_lshl_b64 s[0:1], s[14:15], 1
	v_mov_b32_e32 v4, s1
	v_add_co_u32_e64 v0, s[0:1], s0, v1
	v_addc_co_u32_e64 v1, s[0:1], v2, v4, s[0:1]
	v_mov_b32_e32 v7, 0
	v_div_fixup_f32 v2, v6, v3, v5
	v_bfe_u32 v3, v2, 16, 1
	v_or_b32_e32 v4, 0x400000, v2
	v_add3_u32 v3, v3, v2, s2
	v_cmp_u_f32_e64 s[0:1], v2, v2
	v_cndmask_b32_e64 v2, v3, v4, s[0:1]
	v_cndmask_b32_sdwa v2, v7, v2, vcc dst_sel:DWORD dst_unused:UNUSED_PAD src0_sel:DWORD src1_sel:WORD_1
	global_store_short v[0:1], v2, off
.LBB16_17:
	s_endpgm
	.section	.rodata,"a",@progbits
	.p2align	6, 0x0
	.amdhsa_kernel _Z34scaled_masked_softmax_warp_forwardI14__hip_bfloat16S0_fLi5EEvPT0_PKT_PKhT1_iii
		.amdhsa_group_segment_fixed_size 0
		.amdhsa_private_segment_fixed_size 0
		.amdhsa_kernarg_size 296
		.amdhsa_user_sgpr_count 6
		.amdhsa_user_sgpr_private_segment_buffer 1
		.amdhsa_user_sgpr_dispatch_ptr 0
		.amdhsa_user_sgpr_queue_ptr 0
		.amdhsa_user_sgpr_kernarg_segment_ptr 1
		.amdhsa_user_sgpr_dispatch_id 0
		.amdhsa_user_sgpr_flat_scratch_init 0
		.amdhsa_user_sgpr_private_segment_size 0
		.amdhsa_uses_dynamic_stack 0
		.amdhsa_system_sgpr_private_segment_wavefront_offset 0
		.amdhsa_system_sgpr_workgroup_id_x 1
		.amdhsa_system_sgpr_workgroup_id_y 1
		.amdhsa_system_sgpr_workgroup_id_z 1
		.amdhsa_system_sgpr_workgroup_info 0
		.amdhsa_system_vgpr_workitem_id 1
		.amdhsa_next_free_vgpr 17
		.amdhsa_next_free_sgpr 17
		.amdhsa_reserve_vcc 1
		.amdhsa_reserve_flat_scratch 0
		.amdhsa_float_round_mode_32 0
		.amdhsa_float_round_mode_16_64 0
		.amdhsa_float_denorm_mode_32 3
		.amdhsa_float_denorm_mode_16_64 3
		.amdhsa_dx10_clamp 1
		.amdhsa_ieee_mode 1
		.amdhsa_fp16_overflow 0
		.amdhsa_exception_fp_ieee_invalid_op 0
		.amdhsa_exception_fp_denorm_src 0
		.amdhsa_exception_fp_ieee_div_zero 0
		.amdhsa_exception_fp_ieee_overflow 0
		.amdhsa_exception_fp_ieee_underflow 0
		.amdhsa_exception_fp_ieee_inexact 0
		.amdhsa_exception_int_div_zero 0
	.end_amdhsa_kernel
	.section	.text._Z34scaled_masked_softmax_warp_forwardI14__hip_bfloat16S0_fLi5EEvPT0_PKT_PKhT1_iii,"axG",@progbits,_Z34scaled_masked_softmax_warp_forwardI14__hip_bfloat16S0_fLi5EEvPT0_PKT_PKhT1_iii,comdat
.Lfunc_end16:
	.size	_Z34scaled_masked_softmax_warp_forwardI14__hip_bfloat16S0_fLi5EEvPT0_PKT_PKhT1_iii, .Lfunc_end16-_Z34scaled_masked_softmax_warp_forwardI14__hip_bfloat16S0_fLi5EEvPT0_PKT_PKhT1_iii
                                        ; -- End function
	.set _Z34scaled_masked_softmax_warp_forwardI14__hip_bfloat16S0_fLi5EEvPT0_PKT_PKhT1_iii.num_vgpr, 17
	.set _Z34scaled_masked_softmax_warp_forwardI14__hip_bfloat16S0_fLi5EEvPT0_PKT_PKhT1_iii.num_agpr, 0
	.set _Z34scaled_masked_softmax_warp_forwardI14__hip_bfloat16S0_fLi5EEvPT0_PKT_PKhT1_iii.numbered_sgpr, 17
	.set _Z34scaled_masked_softmax_warp_forwardI14__hip_bfloat16S0_fLi5EEvPT0_PKT_PKhT1_iii.num_named_barrier, 0
	.set _Z34scaled_masked_softmax_warp_forwardI14__hip_bfloat16S0_fLi5EEvPT0_PKT_PKhT1_iii.private_seg_size, 0
	.set _Z34scaled_masked_softmax_warp_forwardI14__hip_bfloat16S0_fLi5EEvPT0_PKT_PKhT1_iii.uses_vcc, 1
	.set _Z34scaled_masked_softmax_warp_forwardI14__hip_bfloat16S0_fLi5EEvPT0_PKT_PKhT1_iii.uses_flat_scratch, 0
	.set _Z34scaled_masked_softmax_warp_forwardI14__hip_bfloat16S0_fLi5EEvPT0_PKT_PKhT1_iii.has_dyn_sized_stack, 0
	.set _Z34scaled_masked_softmax_warp_forwardI14__hip_bfloat16S0_fLi5EEvPT0_PKT_PKhT1_iii.has_recursion, 0
	.set _Z34scaled_masked_softmax_warp_forwardI14__hip_bfloat16S0_fLi5EEvPT0_PKT_PKhT1_iii.has_indirect_call, 0
	.section	.AMDGPU.csdata,"",@progbits
; Kernel info:
; codeLenInByte = 1664
; TotalNumSgprs: 21
; NumVgprs: 17
; ScratchSize: 0
; MemoryBound: 0
; FloatMode: 240
; IeeeMode: 1
; LDSByteSize: 0 bytes/workgroup (compile time only)
; SGPRBlocks: 2
; VGPRBlocks: 4
; NumSGPRsForWavesPerEU: 21
; NumVGPRsForWavesPerEU: 17
; Occupancy: 10
; WaveLimiterHint : 0
; COMPUTE_PGM_RSRC2:SCRATCH_EN: 0
; COMPUTE_PGM_RSRC2:USER_SGPR: 6
; COMPUTE_PGM_RSRC2:TRAP_HANDLER: 0
; COMPUTE_PGM_RSRC2:TGID_X_EN: 1
; COMPUTE_PGM_RSRC2:TGID_Y_EN: 1
; COMPUTE_PGM_RSRC2:TGID_Z_EN: 1
; COMPUTE_PGM_RSRC2:TIDIG_COMP_CNT: 1
	.section	.text._Z34scaled_masked_softmax_warp_forwardI14__hip_bfloat16S0_fLi6EEvPT0_PKT_PKhT1_iii,"axG",@progbits,_Z34scaled_masked_softmax_warp_forwardI14__hip_bfloat16S0_fLi6EEvPT0_PKT_PKhT1_iii,comdat
	.protected	_Z34scaled_masked_softmax_warp_forwardI14__hip_bfloat16S0_fLi6EEvPT0_PKT_PKhT1_iii ; -- Begin function _Z34scaled_masked_softmax_warp_forwardI14__hip_bfloat16S0_fLi6EEvPT0_PKT_PKhT1_iii
	.globl	_Z34scaled_masked_softmax_warp_forwardI14__hip_bfloat16S0_fLi6EEvPT0_PKT_PKhT1_iii
	.p2align	8
	.type	_Z34scaled_masked_softmax_warp_forwardI14__hip_bfloat16S0_fLi6EEvPT0_PKT_PKhT1_iii,@function
_Z34scaled_masked_softmax_warp_forwardI14__hip_bfloat16S0_fLi6EEvPT0_PKT_PKhT1_iii: ; @_Z34scaled_masked_softmax_warp_forwardI14__hip_bfloat16S0_fLi6EEvPT0_PKT_PKhT1_iii
; %bb.0:
	s_load_dword s2, s[4:5], 0x34
	s_load_dwordx4 s[12:15], s[4:5], 0x18
	s_load_dwordx2 s[0:1], s[4:5], 0x28
	s_waitcnt lgkmcnt(0)
	s_lshr_b32 s2, s2, 16
	s_cmp_eq_u32 s15, 1
	s_mov_b32 s15, s6
	s_cbranch_scc1 .LBB17_2
; %bb.1:
	s_mul_i32 s3, s0, s8
	s_add_i32 s15, s3, s6
.LBB17_2:
	s_mul_i32 s1, s1, s8
	s_add_i32 s1, s1, s7
	s_mul_i32 s0, s0, s1
	s_and_b32 s16, 0xffff, s2
	s_add_i32 s0, s0, s6
	s_mul_i32 s0, s0, s16
	v_add_lshl_u32 v4, s0, v1, 1
	v_mad_u64_u32 v[2:3], s[0:1], v4, s14, v[0:1]
	s_load_dwordx4 s[8:11], s[4:5], 0x0
	s_load_dwordx2 s[2:3], s[4:5], 0x10
	v_sub_u32_e32 v8, s13, v4
	v_ashrrev_i32_e32 v3, 31, v2
	v_lshlrev_b64 v[2:3], 1, v[2:3]
	v_cmp_lt_i32_e32 vcc, 0, v8
                                        ; implicit-def: $vgpr10
                                        ; implicit-def: $vgpr9
                                        ; implicit-def: $vgpr12
                                        ; implicit-def: $vgpr11
	s_and_saveexec_b64 s[6:7], vcc
	s_cbranch_execz .LBB17_22
; %bb.3:
	s_mul_i32 s0, s15, s16
	v_add_u32_e32 v1, s0, v1
	v_mul_lo_u32 v1, s14, v1
	s_waitcnt lgkmcnt(0)
	v_mov_b32_e32 v5, s11
	v_add_co_u32_e64 v4, s[0:1], s10, v2
	v_addc_co_u32_e64 v5, s[0:1], v5, v3, s[0:1]
	v_lshl_add_u32 v1, v1, 1, v0
	v_ashrrev_i32_e32 v7, 31, v1
	v_mov_b32_e32 v9, s3
	v_add_co_u32_e64 v6, s[0:1], s2, v1
	v_addc_co_u32_e64 v7, s[0:1], v9, v7, s[0:1]
	v_cmp_gt_i32_e64 s[2:3], s14, v0
	v_mov_b32_e32 v9, 0xff800000
	v_mov_b32_e32 v10, 0xff800000
	s_and_saveexec_b64 s[4:5], s[2:3]
	s_cbranch_execz .LBB17_7
; %bb.4:
	global_load_ubyte v1, v[6:7], off
	v_mov_b32_e32 v10, 0xc61c4000
	s_waitcnt vmcnt(0)
	v_cmp_ne_u16_e64 s[0:1], 1, v1
	s_and_saveexec_b64 s[10:11], s[0:1]
	s_cbranch_execz .LBB17_6
; %bb.5:
	global_load_ushort v1, v[4:5], off
	s_waitcnt vmcnt(0)
	v_lshlrev_b32_e32 v1, 16, v1
	v_mul_f32_e32 v10, s12, v1
.LBB17_6:
	s_or_b64 exec, exec, s[10:11]
.LBB17_7:
	s_or_b64 exec, exec, s[4:5]
	v_add_u32_e32 v1, 32, v0
	v_cmp_gt_i32_e64 s[0:1], s14, v1
	s_and_saveexec_b64 s[10:11], s[0:1]
	s_cbranch_execz .LBB17_11
; %bb.8:
	global_load_ubyte v1, v[6:7], off offset:32
	v_mov_b32_e32 v9, 0xc61c4000
	s_waitcnt vmcnt(0)
	v_cmp_ne_u16_e64 s[4:5], 1, v1
	s_and_saveexec_b64 s[16:17], s[4:5]
	s_cbranch_execz .LBB17_10
; %bb.9:
	global_load_ushort v1, v[4:5], off offset:64
	s_waitcnt vmcnt(0)
	v_lshlrev_b32_e32 v1, 16, v1
	v_mul_f32_e32 v9, s12, v1
.LBB17_10:
	s_or_b64 exec, exec, s[16:17]
.LBB17_11:
	s_or_b64 exec, exec, s[10:11]
	v_cmp_ne_u32_e64 s[4:5], 1, v8
                                        ; implicit-def: $vgpr12
                                        ; implicit-def: $vgpr11
	s_and_saveexec_b64 s[10:11], s[4:5]
	s_cbranch_execz .LBB17_21
; %bb.12:
	v_mov_b32_e32 v11, 0xff800000
	v_mov_b32_e32 v12, 0xff800000
	s_and_saveexec_b64 s[4:5], s[2:3]
	s_cbranch_execz .LBB17_16
; %bb.13:
	v_add_co_u32_e64 v12, s[2:3], s14, v6
	v_addc_co_u32_e64 v13, s[2:3], 0, v7, s[2:3]
	global_load_ubyte v1, v[12:13], off
	s_mov_b32 s15, 0
	v_mov_b32_e32 v12, 0xc61c4000
	s_waitcnt vmcnt(0)
	v_cmp_ne_u16_e64 s[2:3], 1, v1
	s_and_saveexec_b64 s[16:17], s[2:3]
	s_cbranch_execz .LBB17_15
; %bb.14:
	s_lshl_b64 s[2:3], s[14:15], 1
	v_mov_b32_e32 v1, s3
	v_add_co_u32_e64 v12, s[2:3], s2, v4
	v_addc_co_u32_e64 v13, s[2:3], v5, v1, s[2:3]
	global_load_ushort v1, v[12:13], off
	s_waitcnt vmcnt(0)
	v_lshlrev_b32_e32 v1, 16, v1
	v_mul_f32_e32 v12, s12, v1
.LBB17_15:
	s_or_b64 exec, exec, s[16:17]
.LBB17_16:
	s_or_b64 exec, exec, s[4:5]
	s_and_saveexec_b64 s[2:3], s[0:1]
	s_xor_b64 s[2:3], exec, s[2:3]
	s_cbranch_execz .LBB17_20
; %bb.17:
	v_add_co_u32_e64 v6, s[0:1], s14, v6
	v_addc_co_u32_e64 v7, s[0:1], 0, v7, s[0:1]
	global_load_ubyte v1, v[6:7], off offset:32
	s_mov_b32 s15, 0
	v_mov_b32_e32 v11, 0xc61c4000
	s_waitcnt vmcnt(0)
	v_cmp_ne_u16_e64 s[0:1], 1, v1
	s_and_saveexec_b64 s[4:5], s[0:1]
	s_xor_b64 s[4:5], exec, s[4:5]
	s_cbranch_execz .LBB17_19
; %bb.18:
	s_lshl_b64 s[0:1], s[14:15], 1
	v_mov_b32_e32 v1, s1
	v_add_co_u32_e64 v4, s[0:1], s0, v4
	v_addc_co_u32_e64 v5, s[0:1], v5, v1, s[0:1]
	global_load_ushort v1, v[4:5], off offset:64
	s_waitcnt vmcnt(0)
	v_lshlrev_b32_e32 v1, 16, v1
	v_mul_f32_e32 v11, s12, v1
.LBB17_19:
	s_or_b64 exec, exec, s[4:5]
.LBB17_20:
	s_or_b64 exec, exec, s[2:3]
.LBB17_21:
	s_or_b64 exec, exec, s[10:11]
.LBB17_22:
	s_or_b64 exec, exec, s[6:7]
	v_mbcnt_lo_u32_b32 v1, -1, 0
	v_mbcnt_hi_u32_b32 v5, -1, v1
	v_and_b32_e32 v1, 0x60, v5
	v_cmp_gt_f32_e64 s[0:1], v10, v9
	v_add_u32_e32 v6, 32, v1
	v_xor_b32_e32 v1, 16, v5
	v_cndmask_b32_e64 v4, v9, v10, s[0:1]
	v_cmp_lt_i32_e64 s[0:1], v1, v6
	v_cndmask_b32_e64 v1, v5, v1, s[0:1]
	v_lshlrev_b32_e32 v1, 2, v1
	ds_bpermute_b32 v7, v1, v4
	v_cmp_gt_f32_e64 s[0:1], v12, v11
	v_cndmask_b32_e64 v14, v11, v12, s[0:1]
	v_xor_b32_e32 v13, 8, v5
	s_waitcnt lgkmcnt(0)
	s_mov_b32 s2, 0x3fb8aa3b
	v_cmp_lt_f32_e64 s[0:1], v4, v7
	v_cndmask_b32_e64 v4, v4, v7, s[0:1]
	v_cmp_lt_i32_e64 s[0:1], v13, v6
	v_cndmask_b32_e64 v13, v5, v13, s[0:1]
	ds_bpermute_b32 v7, v1, v14
	v_lshlrev_b32_e32 v13, 2, v13
	ds_bpermute_b32 v15, v13, v4
	s_mov_b32 s3, 0xc2ce8ed0
	s_mov_b32 s4, 0x42b17218
	s_waitcnt lgkmcnt(1)
	v_cmp_lt_f32_e64 s[0:1], v14, v7
	v_cndmask_b32_e64 v7, v14, v7, s[0:1]
	s_waitcnt lgkmcnt(0)
	v_cmp_lt_f32_e64 s[0:1], v4, v15
	v_cndmask_b32_e64 v4, v4, v15, s[0:1]
	v_xor_b32_e32 v15, 4, v5
	v_cmp_lt_i32_e64 s[0:1], v15, v6
	v_cndmask_b32_e64 v15, v5, v15, s[0:1]
	ds_bpermute_b32 v14, v13, v7
	v_lshlrev_b32_e32 v16, 2, v15
	ds_bpermute_b32 v15, v16, v4
	v_mov_b32_e32 v19, 0x7f800000
	s_waitcnt lgkmcnt(1)
	v_cmp_lt_f32_e64 s[0:1], v7, v14
	v_cndmask_b32_e64 v7, v7, v14, s[0:1]
	s_waitcnt lgkmcnt(0)
	v_cmp_lt_f32_e64 s[0:1], v4, v15
	v_cndmask_b32_e64 v4, v4, v15, s[0:1]
	v_xor_b32_e32 v15, 2, v5
	v_cmp_lt_i32_e64 s[0:1], v15, v6
	v_cndmask_b32_e64 v15, v5, v15, s[0:1]
	ds_bpermute_b32 v14, v16, v7
	v_lshlrev_b32_e32 v17, 2, v15
	ds_bpermute_b32 v15, v17, v4
	s_waitcnt lgkmcnt(1)
	v_cmp_lt_f32_e64 s[0:1], v7, v14
	v_cndmask_b32_e64 v7, v7, v14, s[0:1]
	s_waitcnt lgkmcnt(0)
	v_cmp_lt_f32_e64 s[0:1], v4, v15
	v_cndmask_b32_e64 v4, v4, v15, s[0:1]
	v_xor_b32_e32 v15, 1, v5
	v_cmp_lt_i32_e64 s[0:1], v15, v6
	v_cndmask_b32_e64 v5, v5, v15, s[0:1]
	ds_bpermute_b32 v14, v17, v7
	v_lshlrev_b32_e32 v18, 2, v5
	ds_bpermute_b32 v5, v18, v4
	s_waitcnt lgkmcnt(1)
	v_cmp_lt_f32_e64 s[0:1], v7, v14
	v_cndmask_b32_e64 v6, v7, v14, s[0:1]
	s_waitcnt lgkmcnt(0)
	v_cmp_lt_f32_e64 s[0:1], v4, v5
	v_cndmask_b32_e64 v14, v4, v5, s[0:1]
	v_sub_f32_e32 v7, v10, v14
	ds_bpermute_b32 v4, v18, v6
	v_mul_f32_e32 v5, 0x3fb8aa3b, v7
	v_fma_f32 v10, v7, s2, -v5
	v_rndne_f32_e32 v15, v5
	v_fmac_f32_e32 v10, 0x32a5705f, v7
	v_sub_f32_e32 v5, v5, v15
	v_add_f32_e32 v5, v5, v10
	v_exp_f32_e32 v10, v5
	v_cvt_i32_f32_e32 v15, v15
	s_waitcnt lgkmcnt(0)
	v_cmp_lt_f32_e64 s[0:1], v6, v4
	v_cndmask_b32_e64 v5, v6, v4, s[0:1]
	v_sub_f32_e32 v6, v9, v14
	v_mul_f32_e32 v9, 0x3fb8aa3b, v6
	v_ldexp_f32 v4, v10, v15
	v_fma_f32 v10, v6, s2, -v9
	v_rndne_f32_e32 v15, v9
	v_fmac_f32_e32 v10, 0x32a5705f, v6
	v_sub_f32_e32 v9, v9, v15
	v_add_f32_e32 v9, v9, v10
	v_exp_f32_e32 v9, v9
	v_cvt_i32_f32_e32 v10, v15
	v_cmp_ngt_f32_e64 s[0:1], s3, v7
	v_cndmask_b32_e64 v4, 0, v4, s[0:1]
	v_cmp_nlt_f32_e64 s[0:1], s4, v7
	v_cndmask_b32_e64 v15, v19, v4, s[0:1]
	v_ldexp_f32 v4, v9, v10
	v_sub_f32_e32 v9, v12, v5
	v_mul_f32_e32 v7, 0x3fb8aa3b, v9
	v_fma_f32 v10, v9, s2, -v7
	v_rndne_f32_e32 v12, v7
	v_fmac_f32_e32 v10, 0x32a5705f, v9
	v_sub_f32_e32 v7, v7, v12
	v_add_f32_e32 v7, v7, v10
	v_exp_f32_e32 v10, v7
	v_cvt_i32_f32_e32 v12, v12
	v_cmp_ngt_f32_e64 s[0:1], s3, v6
	v_cndmask_b32_e64 v4, 0, v4, s[0:1]
	v_cmp_nlt_f32_e64 s[0:1], s4, v6
	v_cndmask_b32_e64 v7, v19, v4, s[0:1]
	v_ldexp_f32 v4, v10, v12
	v_sub_f32_e32 v10, v11, v5
	v_mul_f32_e32 v6, 0x3fb8aa3b, v10
	v_fma_f32 v11, v10, s2, -v6
	v_rndne_f32_e32 v12, v6
	v_fmac_f32_e32 v11, 0x32a5705f, v10
	v_sub_f32_e32 v6, v6, v12
	v_add_f32_e32 v6, v6, v11
	v_exp_f32_e32 v11, v6
	v_cvt_i32_f32_e32 v12, v12
	v_cmp_ngt_f32_e64 s[0:1], s3, v9
	v_cndmask_b32_e64 v4, 0, v4, s[0:1]
	v_cmp_nlt_f32_e64 s[0:1], s4, v9
	v_cndmask_b32_e64 v6, v19, v4, s[0:1]
	v_ldexp_f32 v4, v11, v12
	v_cmp_ngt_f32_e64 s[0:1], s3, v10
	v_cndmask_b32_e64 v4, 0, v4, s[0:1]
	v_cmp_nlt_f32_e64 s[0:1], s4, v10
	v_cndmask_b32_e64 v4, v19, v4, s[0:1]
	v_add_f32_e32 v20, v15, v7
	v_add_f32_e32 v9, v6, v4
	ds_bpermute_b32 v10, v1, v20
	ds_bpermute_b32 v1, v1, v9
	s_waitcnt lgkmcnt(1)
	v_add_f32_e32 v10, v20, v10
	s_waitcnt lgkmcnt(0)
	v_add_f32_e32 v1, v9, v1
	ds_bpermute_b32 v9, v13, v10
	ds_bpermute_b32 v11, v13, v1
	s_waitcnt lgkmcnt(1)
	v_add_f32_e32 v9, v10, v9
	s_waitcnt lgkmcnt(0)
	;; [unrolled: 6-line block ×4, first 2 shown]
	v_add_f32_e32 v9, v1, v12
	ds_bpermute_b32 v12, v18, v11
	ds_bpermute_b32 v10, v18, v9
	s_and_saveexec_b64 s[0:1], vcc
	s_cbranch_execz .LBB17_38
; %bb.23:
	v_mov_b32_e32 v13, s9
	v_add_co_u32_e32 v1, vcc, s8, v2
	v_addc_co_u32_e32 v2, vcc, v13, v3, vcc
	v_cmp_gt_i32_e64 s[0:1], s14, v0
	s_and_saveexec_b64 s[4:5], s[0:1]
	s_cbranch_execz .LBB17_30
; %bb.24:
	s_mov_b32 s2, 0xc61c4000
	v_cmp_neq_f32_e64 s[2:3], s2, v14
	s_waitcnt lgkmcnt(1)
	v_add_f32_e32 v3, v11, v12
	v_mov_b32_e32 v11, 0
	s_and_saveexec_b64 s[6:7], s[2:3]
	s_cbranch_execz .LBB17_26
; %bb.25:
	v_div_scale_f32 v11, s[8:9], v3, v3, v15
	v_div_scale_f32 v12, vcc, v15, v3, v15
	s_movk_i32 s8, 0x7fff
	v_rcp_f32_e32 v13, v11
	v_fma_f32 v14, -v11, v13, 1.0
	v_fmac_f32_e32 v13, v14, v13
	v_mul_f32_e32 v14, v12, v13
	v_fma_f32 v16, -v11, v14, v12
	v_fmac_f32_e32 v14, v16, v13
	v_fma_f32 v11, -v11, v14, v12
	v_div_fmas_f32 v11, v11, v13, v14
	v_div_fixup_f32 v11, v11, v3, v15
	v_bfe_u32 v12, v11, 16, 1
	v_or_b32_e32 v13, 0x400000, v11
	v_add3_u32 v12, v12, v11, s8
	v_cmp_u_f32_e32 vcc, v11, v11
	v_cndmask_b32_e32 v11, v12, v13, vcc
	v_lshrrev_b32_e32 v11, 16, v11
.LBB17_26:
	s_or_b64 exec, exec, s[6:7]
	global_store_short v[1:2], v11, off
	v_add_u32_e32 v11, 32, v0
	v_cmp_gt_u32_e32 vcc, s14, v11
	s_and_b64 exec, exec, vcc
	s_cbranch_execz .LBB17_30
; %bb.27:
	v_mov_b32_e32 v11, 0
	s_and_saveexec_b64 s[6:7], s[2:3]
	s_cbranch_execz .LBB17_29
; %bb.28:
	v_div_scale_f32 v11, s[2:3], v3, v3, v7
	v_div_scale_f32 v12, vcc, v7, v3, v7
	s_movk_i32 s2, 0x7fff
	v_rcp_f32_e32 v13, v11
	v_fma_f32 v14, -v11, v13, 1.0
	v_fmac_f32_e32 v13, v14, v13
	v_mul_f32_e32 v14, v12, v13
	v_fma_f32 v15, -v11, v14, v12
	v_fmac_f32_e32 v14, v15, v13
	v_fma_f32 v11, -v11, v14, v12
	v_div_fmas_f32 v11, v11, v13, v14
	v_div_fixup_f32 v3, v11, v3, v7
	v_bfe_u32 v7, v3, 16, 1
	v_or_b32_e32 v11, 0x400000, v3
	v_add3_u32 v7, v7, v3, s2
	v_cmp_u_f32_e32 vcc, v3, v3
	v_cndmask_b32_e32 v3, v7, v11, vcc
	v_lshrrev_b32_e32 v11, 16, v3
.LBB17_29:
	s_or_b64 exec, exec, s[6:7]
	global_store_short v[1:2], v11, off offset:64
.LBB17_30:
	s_or_b64 exec, exec, s[4:5]
	v_cmp_ne_u32_e32 vcc, 1, v8
	s_and_saveexec_b64 s[2:3], vcc
	s_xor_b64 s[2:3], exec, s[2:3]
	s_cbranch_execz .LBB17_38
; %bb.31:
	s_and_b64 exec, exec, s[0:1]
	s_cbranch_execz .LBB17_38
; %bb.32:
	s_mov_b32 s0, 0xc61c4000
	v_cmp_neq_f32_e64 s[0:1], s0, v5
	s_waitcnt lgkmcnt(0)
	v_add_f32_e32 v3, v9, v10
	v_mov_b32_e32 v5, 0
	s_and_saveexec_b64 s[2:3], s[0:1]
	s_cbranch_execz .LBB17_34
; %bb.33:
	v_div_scale_f32 v5, s[4:5], v3, v3, v6
	v_div_scale_f32 v7, vcc, v6, v3, v6
	s_movk_i32 s4, 0x7fff
	v_rcp_f32_e32 v8, v5
	v_fma_f32 v9, -v5, v8, 1.0
	v_fmac_f32_e32 v8, v9, v8
	v_mul_f32_e32 v9, v7, v8
	v_fma_f32 v10, -v5, v9, v7
	v_fmac_f32_e32 v9, v10, v8
	v_fma_f32 v5, -v5, v9, v7
	v_div_fmas_f32 v5, v5, v8, v9
	v_div_fixup_f32 v5, v5, v3, v6
	v_bfe_u32 v6, v5, 16, 1
	v_or_b32_e32 v7, 0x400000, v5
	v_add3_u32 v6, v6, v5, s4
	v_cmp_u_f32_e32 vcc, v5, v5
	v_cndmask_b32_e32 v5, v6, v7, vcc
	v_lshrrev_b32_e32 v5, 16, v5
.LBB17_34:
	s_or_b64 exec, exec, s[2:3]
	s_ashr_i32 s15, s14, 31
	s_lshl_b64 s[2:3], s[14:15], 1
	v_mov_b32_e32 v6, s3
	v_add_co_u32_e32 v1, vcc, s2, v1
	v_addc_co_u32_e32 v2, vcc, v2, v6, vcc
	v_add_u32_e32 v0, 32, v0
	v_cmp_gt_u32_e32 vcc, s14, v0
	global_store_short v[1:2], v5, off
	s_and_b64 exec, exec, vcc
	s_cbranch_execz .LBB17_38
; %bb.35:
	v_mov_b32_e32 v0, 0
	s_and_saveexec_b64 s[2:3], s[0:1]
	s_cbranch_execz .LBB17_37
; %bb.36:
	v_div_scale_f32 v0, s[0:1], v3, v3, v4
	v_div_scale_f32 v5, vcc, v4, v3, v4
	s_movk_i32 s0, 0x7fff
	v_rcp_f32_e32 v6, v0
	v_fma_f32 v7, -v0, v6, 1.0
	v_fmac_f32_e32 v6, v7, v6
	v_mul_f32_e32 v7, v5, v6
	v_fma_f32 v8, -v0, v7, v5
	v_fmac_f32_e32 v7, v8, v6
	v_fma_f32 v0, -v0, v7, v5
	v_div_fmas_f32 v0, v0, v6, v7
	v_div_fixup_f32 v0, v0, v3, v4
	v_bfe_u32 v3, v0, 16, 1
	v_or_b32_e32 v4, 0x400000, v0
	v_add3_u32 v3, v3, v0, s0
	v_cmp_u_f32_e32 vcc, v0, v0
	v_cndmask_b32_e32 v0, v3, v4, vcc
	v_lshrrev_b32_e32 v0, 16, v0
.LBB17_37:
	s_or_b64 exec, exec, s[2:3]
	global_store_short v[1:2], v0, off offset:64
.LBB17_38:
	s_endpgm
	.section	.rodata,"a",@progbits
	.p2align	6, 0x0
	.amdhsa_kernel _Z34scaled_masked_softmax_warp_forwardI14__hip_bfloat16S0_fLi6EEvPT0_PKT_PKhT1_iii
		.amdhsa_group_segment_fixed_size 0
		.amdhsa_private_segment_fixed_size 0
		.amdhsa_kernarg_size 296
		.amdhsa_user_sgpr_count 6
		.amdhsa_user_sgpr_private_segment_buffer 1
		.amdhsa_user_sgpr_dispatch_ptr 0
		.amdhsa_user_sgpr_queue_ptr 0
		.amdhsa_user_sgpr_kernarg_segment_ptr 1
		.amdhsa_user_sgpr_dispatch_id 0
		.amdhsa_user_sgpr_flat_scratch_init 0
		.amdhsa_user_sgpr_private_segment_size 0
		.amdhsa_uses_dynamic_stack 0
		.amdhsa_system_sgpr_private_segment_wavefront_offset 0
		.amdhsa_system_sgpr_workgroup_id_x 1
		.amdhsa_system_sgpr_workgroup_id_y 1
		.amdhsa_system_sgpr_workgroup_id_z 1
		.amdhsa_system_sgpr_workgroup_info 0
		.amdhsa_system_vgpr_workitem_id 1
		.amdhsa_next_free_vgpr 21
		.amdhsa_next_free_sgpr 18
		.amdhsa_reserve_vcc 1
		.amdhsa_reserve_flat_scratch 0
		.amdhsa_float_round_mode_32 0
		.amdhsa_float_round_mode_16_64 0
		.amdhsa_float_denorm_mode_32 3
		.amdhsa_float_denorm_mode_16_64 3
		.amdhsa_dx10_clamp 1
		.amdhsa_ieee_mode 1
		.amdhsa_fp16_overflow 0
		.amdhsa_exception_fp_ieee_invalid_op 0
		.amdhsa_exception_fp_denorm_src 0
		.amdhsa_exception_fp_ieee_div_zero 0
		.amdhsa_exception_fp_ieee_overflow 0
		.amdhsa_exception_fp_ieee_underflow 0
		.amdhsa_exception_fp_ieee_inexact 0
		.amdhsa_exception_int_div_zero 0
	.end_amdhsa_kernel
	.section	.text._Z34scaled_masked_softmax_warp_forwardI14__hip_bfloat16S0_fLi6EEvPT0_PKT_PKhT1_iii,"axG",@progbits,_Z34scaled_masked_softmax_warp_forwardI14__hip_bfloat16S0_fLi6EEvPT0_PKT_PKhT1_iii,comdat
.Lfunc_end17:
	.size	_Z34scaled_masked_softmax_warp_forwardI14__hip_bfloat16S0_fLi6EEvPT0_PKT_PKhT1_iii, .Lfunc_end17-_Z34scaled_masked_softmax_warp_forwardI14__hip_bfloat16S0_fLi6EEvPT0_PKT_PKhT1_iii
                                        ; -- End function
	.set _Z34scaled_masked_softmax_warp_forwardI14__hip_bfloat16S0_fLi6EEvPT0_PKT_PKhT1_iii.num_vgpr, 21
	.set _Z34scaled_masked_softmax_warp_forwardI14__hip_bfloat16S0_fLi6EEvPT0_PKT_PKhT1_iii.num_agpr, 0
	.set _Z34scaled_masked_softmax_warp_forwardI14__hip_bfloat16S0_fLi6EEvPT0_PKT_PKhT1_iii.numbered_sgpr, 18
	.set _Z34scaled_masked_softmax_warp_forwardI14__hip_bfloat16S0_fLi6EEvPT0_PKT_PKhT1_iii.num_named_barrier, 0
	.set _Z34scaled_masked_softmax_warp_forwardI14__hip_bfloat16S0_fLi6EEvPT0_PKT_PKhT1_iii.private_seg_size, 0
	.set _Z34scaled_masked_softmax_warp_forwardI14__hip_bfloat16S0_fLi6EEvPT0_PKT_PKhT1_iii.uses_vcc, 1
	.set _Z34scaled_masked_softmax_warp_forwardI14__hip_bfloat16S0_fLi6EEvPT0_PKT_PKhT1_iii.uses_flat_scratch, 0
	.set _Z34scaled_masked_softmax_warp_forwardI14__hip_bfloat16S0_fLi6EEvPT0_PKT_PKhT1_iii.has_dyn_sized_stack, 0
	.set _Z34scaled_masked_softmax_warp_forwardI14__hip_bfloat16S0_fLi6EEvPT0_PKT_PKhT1_iii.has_recursion, 0
	.set _Z34scaled_masked_softmax_warp_forwardI14__hip_bfloat16S0_fLi6EEvPT0_PKT_PKhT1_iii.has_indirect_call, 0
	.section	.AMDGPU.csdata,"",@progbits
; Kernel info:
; codeLenInByte = 2380
; TotalNumSgprs: 22
; NumVgprs: 21
; ScratchSize: 0
; MemoryBound: 0
; FloatMode: 240
; IeeeMode: 1
; LDSByteSize: 0 bytes/workgroup (compile time only)
; SGPRBlocks: 2
; VGPRBlocks: 5
; NumSGPRsForWavesPerEU: 22
; NumVGPRsForWavesPerEU: 21
; Occupancy: 10
; WaveLimiterHint : 0
; COMPUTE_PGM_RSRC2:SCRATCH_EN: 0
; COMPUTE_PGM_RSRC2:USER_SGPR: 6
; COMPUTE_PGM_RSRC2:TRAP_HANDLER: 0
; COMPUTE_PGM_RSRC2:TGID_X_EN: 1
; COMPUTE_PGM_RSRC2:TGID_Y_EN: 1
; COMPUTE_PGM_RSRC2:TGID_Z_EN: 1
; COMPUTE_PGM_RSRC2:TIDIG_COMP_CNT: 1
	.section	.text._Z34scaled_masked_softmax_warp_forwardI14__hip_bfloat16S0_fLi7EEvPT0_PKT_PKhT1_iii,"axG",@progbits,_Z34scaled_masked_softmax_warp_forwardI14__hip_bfloat16S0_fLi7EEvPT0_PKT_PKhT1_iii,comdat
	.protected	_Z34scaled_masked_softmax_warp_forwardI14__hip_bfloat16S0_fLi7EEvPT0_PKT_PKhT1_iii ; -- Begin function _Z34scaled_masked_softmax_warp_forwardI14__hip_bfloat16S0_fLi7EEvPT0_PKT_PKhT1_iii
	.globl	_Z34scaled_masked_softmax_warp_forwardI14__hip_bfloat16S0_fLi7EEvPT0_PKT_PKhT1_iii
	.p2align	8
	.type	_Z34scaled_masked_softmax_warp_forwardI14__hip_bfloat16S0_fLi7EEvPT0_PKT_PKhT1_iii,@function
_Z34scaled_masked_softmax_warp_forwardI14__hip_bfloat16S0_fLi7EEvPT0_PKT_PKhT1_iii: ; @_Z34scaled_masked_softmax_warp_forwardI14__hip_bfloat16S0_fLi7EEvPT0_PKT_PKhT1_iii
; %bb.0:
	s_load_dword s2, s[4:5], 0x34
	s_load_dwordx4 s[12:15], s[4:5], 0x18
	s_load_dwordx2 s[0:1], s[4:5], 0x28
	s_waitcnt lgkmcnt(0)
	s_lshr_b32 s2, s2, 16
	s_cmp_eq_u32 s15, 1
	s_mov_b32 s15, s6
	s_cbranch_scc1 .LBB18_2
; %bb.1:
	s_mul_i32 s3, s0, s8
	s_add_i32 s15, s3, s6
.LBB18_2:
	s_mul_i32 s1, s1, s8
	s_add_i32 s1, s1, s7
	s_mul_i32 s0, s0, s1
	s_and_b32 s16, 0xffff, s2
	s_add_i32 s0, s0, s6
	s_mul_i32 s0, s0, s16
	v_add_lshl_u32 v4, s0, v1, 1
	v_lshlrev_b32_e32 v0, 2, v0
	v_mad_u64_u32 v[2:3], s[0:1], v4, s14, v[0:1]
	s_load_dwordx4 s[8:11], s[4:5], 0x0
	s_load_dwordx2 s[2:3], s[4:5], 0x10
	v_sub_u32_e32 v8, s13, v4
	v_ashrrev_i32_e32 v3, 31, v2
	v_lshlrev_b64 v[2:3], 1, v[2:3]
	v_cmp_lt_i32_e32 vcc, 0, v8
                                        ; implicit-def: $vgpr18
                                        ; implicit-def: $vgpr17
                                        ; implicit-def: $vgpr13
                                        ; implicit-def: $vgpr10
                                        ; implicit-def: $vgpr16
                                        ; implicit-def: $vgpr15
                                        ; implicit-def: $vgpr11
                                        ; implicit-def: $vgpr9
	s_and_saveexec_b64 s[4:5], vcc
	s_cbranch_execz .LBB18_14
; %bb.3:
	s_mul_i32 s0, s15, s16
	v_add_u32_e32 v1, s0, v1
	v_mul_lo_u32 v1, s14, v1
	s_waitcnt lgkmcnt(0)
	v_mov_b32_e32 v5, s11
	v_add_co_u32_e64 v4, s[0:1], s10, v2
	v_addc_co_u32_e64 v5, s[0:1], v5, v3, s[0:1]
	v_lshl_add_u32 v1, v1, 1, v0
	v_ashrrev_i32_e32 v7, 31, v1
	v_mov_b32_e32 v9, s3
	v_add_co_u32_e64 v6, s[0:1], s2, v1
	v_addc_co_u32_e64 v7, s[0:1], v9, v7, s[0:1]
	v_cmp_gt_i32_e64 s[0:1], s14, v0
	v_mov_b32_e32 v18, 0xff800000
	v_mov_b32_e32 v17, 0xff800000
	;; [unrolled: 1-line block ×4, first 2 shown]
	s_and_saveexec_b64 s[6:7], s[0:1]
	s_cbranch_execz .LBB18_7
; %bb.4:
	global_load_dword v1, v[6:7], off
	global_load_dword v12, v[4:5], off offset:2
	global_load_ushort v9, v[4:5], off offset:6
	v_mov_b32_e32 v10, 1
	s_movk_i32 s10, 0xff
	v_mov_b32_e32 v11, 0xc61c4000
	v_mov_b32_e32 v18, 0xc61c4000
	s_waitcnt vmcnt(2)
	v_lshrrev_b32_e32 v13, 8, v1
	v_cmp_ne_u16_sdwa s[16:17], v1, v10 src0_sel:BYTE_0 src1_sel:DWORD
	s_and_saveexec_b64 s[2:3], s[16:17]
	s_cbranch_execz .LBB18_6
; %bb.5:
	global_load_ushort v14, v[4:5], off
	s_waitcnt vmcnt(0)
	v_lshlrev_b32_e32 v14, 16, v14
	v_mul_f32_e32 v18, s12, v14
.LBB18_6:
	s_or_b64 exec, exec, s[2:3]
	s_waitcnt vmcnt(1)
	v_lshlrev_b32_e32 v15, 16, v12
	v_and_b32_sdwa v14, v1, s10 dst_sel:DWORD dst_unused:UNUSED_PAD src0_sel:WORD_1 src1_sel:DWORD
	v_mul_f32_e32 v15, s12, v15
	v_cmp_ne_u16_sdwa s[2:3], v13, v10 src0_sel:BYTE_0 src1_sel:DWORD
	v_and_b32_e32 v12, 0xffff0000, v12
	v_cndmask_b32_e64 v17, v11, v15, s[2:3]
	v_mul_f32_e32 v12, s12, v12
	v_cmp_ne_u16_e64 s[2:3], 1, v14
	s_waitcnt vmcnt(0)
	v_lshlrev_b32_e32 v9, 16, v9
	v_cndmask_b32_e64 v13, v11, v12, s[2:3]
	v_mul_f32_e32 v9, s12, v9
	v_cmp_ne_u16_sdwa s[2:3], v1, v10 src0_sel:BYTE_3 src1_sel:DWORD
	v_cndmask_b32_e64 v10, v11, v9, s[2:3]
.LBB18_7:
	s_or_b64 exec, exec, s[6:7]
	v_cmp_ne_u32_e64 s[2:3], 1, v8
                                        ; implicit-def: $vgpr16
                                        ; implicit-def: $vgpr15
                                        ; implicit-def: $vgpr11
                                        ; implicit-def: $vgpr9
	s_and_saveexec_b64 s[6:7], s[2:3]
	s_xor_b64 s[2:3], exec, s[6:7]
	s_cbranch_execz .LBB18_13
; %bb.8:
	v_mov_b32_e32 v16, 0xff800000
	v_mov_b32_e32 v15, 0xff800000
	;; [unrolled: 1-line block ×4, first 2 shown]
	s_and_saveexec_b64 s[6:7], s[0:1]
	s_cbranch_execz .LBB18_12
; %bb.9:
	v_add_co_u32_e64 v6, s[0:1], s14, v6
	s_mov_b32 s15, 0
	v_addc_co_u32_e64 v7, s[0:1], 0, v7, s[0:1]
	s_lshl_b64 s[0:1], s[14:15], 1
	v_mov_b32_e32 v9, s1
	v_add_co_u32_e64 v4, s[0:1], s0, v4
	global_load_dword v1, v[6:7], off
	v_addc_co_u32_e64 v5, s[0:1], v5, v9, s[0:1]
	global_load_dword v11, v[4:5], off offset:2
	global_load_ushort v6, v[4:5], off offset:6
	v_mov_b32_e32 v7, 1
	s_movk_i32 s10, 0xff
	v_mov_b32_e32 v9, 0xc61c4000
	v_mov_b32_e32 v16, 0xc61c4000
	s_waitcnt vmcnt(2)
	v_lshrrev_b32_e32 v12, 8, v1
	v_cmp_ne_u16_sdwa s[16:17], v1, v7 src0_sel:BYTE_0 src1_sel:DWORD
	s_and_saveexec_b64 s[0:1], s[16:17]
	s_cbranch_execz .LBB18_11
; %bb.10:
	global_load_ushort v4, v[4:5], off
	s_waitcnt vmcnt(0)
	v_lshlrev_b32_e32 v4, 16, v4
	v_mul_f32_e32 v16, s12, v4
.LBB18_11:
	s_or_b64 exec, exec, s[0:1]
	s_waitcnt vmcnt(1)
	v_lshlrev_b32_e32 v5, 16, v11
	v_mul_f32_e32 v5, s12, v5
	v_cmp_ne_u16_sdwa s[0:1], v12, v7 src0_sel:BYTE_0 src1_sel:DWORD
	v_and_b32_sdwa v4, v1, s10 dst_sel:DWORD dst_unused:UNUSED_PAD src0_sel:WORD_1 src1_sel:DWORD
	v_cndmask_b32_e64 v15, v9, v5, s[0:1]
	v_and_b32_e32 v5, 0xffff0000, v11
	v_mul_f32_e32 v5, s12, v5
	v_cmp_ne_u16_e64 s[0:1], 1, v4
	s_waitcnt vmcnt(0)
	v_lshlrev_b32_e32 v4, 16, v6
	v_cndmask_b32_e64 v11, v9, v5, s[0:1]
	v_mul_f32_e32 v4, s12, v4
	v_cmp_ne_u16_sdwa s[0:1], v1, v7 src0_sel:BYTE_3 src1_sel:DWORD
	v_cndmask_b32_e64 v9, v9, v4, s[0:1]
.LBB18_12:
	s_or_b64 exec, exec, s[6:7]
.LBB18_13:
	s_or_b64 exec, exec, s[2:3]
.LBB18_14:
	s_or_b64 exec, exec, s[4:5]
	v_cmp_gt_f32_e64 s[0:1], v18, v17
	v_cndmask_b32_e64 v1, v17, v18, s[0:1]
	v_cmp_gt_f32_e64 s[0:1], v1, v13
	v_cndmask_b32_e64 v4, v13, v1, s[0:1]
	;; [unrolled: 2-line block ×4, first 2 shown]
	v_mbcnt_lo_u32_b32 v1, -1, 0
	v_mbcnt_hi_u32_b32 v7, -1, v1
	v_and_b32_e32 v1, 0x60, v7
	v_add_u32_e32 v19, 32, v1
	v_xor_b32_e32 v1, 16, v7
	v_cmp_lt_i32_e64 s[0:1], v1, v19
	v_cndmask_b32_e64 v1, v7, v1, s[0:1]
	v_lshlrev_b32_e32 v12, 2, v1
	v_xor_b32_e32 v1, 8, v7
	v_cmp_lt_i32_e64 s[0:1], v1, v19
	v_cndmask_b32_e64 v1, v7, v1, s[0:1]
	v_lshlrev_b32_e32 v6, 2, v1
	v_xor_b32_e32 v1, 4, v7
	v_cmp_lt_i32_e64 s[0:1], v1, v19
	v_xor_b32_e32 v14, 2, v7
	v_cndmask_b32_e64 v1, v7, v1, s[0:1]
	v_cmp_lt_i32_e64 s[0:1], v14, v19
	v_cndmask_b32_e64 v14, v7, v14, s[0:1]
	v_cmp_gt_f32_e64 s[0:1], v4, v10
	v_cndmask_b32_e64 v4, v10, v4, s[0:1]
	ds_bpermute_b32 v20, v12, v4
	v_cmp_gt_f32_e64 s[0:1], v5, v9
	v_cndmask_b32_e64 v5, v9, v5, s[0:1]
	ds_bpermute_b32 v21, v12, v5
	v_lshlrev_b32_e32 v1, 2, v1
	s_waitcnt lgkmcnt(0)
	v_cmp_lt_f32_e64 s[0:1], v4, v20
	v_cndmask_b32_e64 v4, v4, v20, s[0:1]
	ds_bpermute_b32 v20, v6, v4
	v_cmp_lt_f32_e64 s[0:1], v5, v21
	v_cndmask_b32_e64 v5, v5, v21, s[0:1]
	ds_bpermute_b32 v21, v6, v5
	v_xor_b32_e32 v22, 1, v7
	s_waitcnt lgkmcnt(1)
	v_cmp_lt_f32_e64 s[0:1], v4, v20
	v_cndmask_b32_e64 v4, v4, v20, s[0:1]
	ds_bpermute_b32 v20, v1, v4
	v_cmp_lt_i32_e64 s[0:1], v22, v19
	v_cndmask_b32_e64 v7, v7, v22, s[0:1]
	s_waitcnt lgkmcnt(1)
	v_cmp_lt_f32_e64 s[0:1], v5, v21
	v_cndmask_b32_e64 v5, v5, v21, s[0:1]
	s_waitcnt lgkmcnt(0)
	v_cmp_lt_f32_e64 s[0:1], v4, v20
	v_lshlrev_b32_e32 v14, 2, v14
	ds_bpermute_b32 v21, v1, v5
	v_cndmask_b32_e64 v4, v4, v20, s[0:1]
	ds_bpermute_b32 v20, v14, v4
	v_lshlrev_b32_e32 v19, 2, v7
	s_mov_b32 s6, 0x3fb8aa3b
	s_waitcnt lgkmcnt(1)
	v_cmp_lt_f32_e64 s[0:1], v5, v21
	v_cndmask_b32_e64 v5, v5, v21, s[0:1]
	s_waitcnt lgkmcnt(0)
	v_cmp_lt_f32_e64 s[0:1], v4, v20
	ds_bpermute_b32 v7, v14, v5
	v_cndmask_b32_e64 v4, v4, v20, s[0:1]
	ds_bpermute_b32 v20, v19, v4
	s_mov_b32 s7, 0xc2ce8ed0
	s_mov_b32 s10, 0x42b17218
	s_waitcnt lgkmcnt(1)
	v_cmp_lt_f32_e64 s[0:1], v5, v7
	v_cndmask_b32_e64 v5, v5, v7, s[0:1]
	s_waitcnt lgkmcnt(0)
	v_cmp_lt_f32_e64 s[0:1], v4, v20
	v_cndmask_b32_e64 v20, v4, v20, s[0:1]
	v_sub_f32_e32 v21, v18, v20
	v_mul_f32_e32 v4, 0x3fb8aa3b, v21
	v_fma_f32 v18, v21, s6, -v4
	v_rndne_f32_e32 v22, v4
	ds_bpermute_b32 v7, v19, v5
	v_fmac_f32_e32 v18, 0x32a5705f, v21
	v_sub_f32_e32 v4, v4, v22
	v_add_f32_e32 v4, v4, v18
	v_exp_f32_e32 v4, v4
	v_cvt_i32_f32_e32 v22, v22
	s_waitcnt lgkmcnt(0)
	v_cmp_lt_f32_e64 s[0:1], v5, v7
	v_cndmask_b32_e64 v18, v5, v7, s[0:1]
	v_cmp_ngt_f32_e64 s[0:1], s7, v21
	v_ldexp_f32 v4, v4, v22
	v_sub_f32_e32 v7, v17, v20
	v_cndmask_b32_e64 v5, 0, v4, s[0:1]
	v_mul_f32_e32 v4, 0x3fb8aa3b, v7
	v_fma_f32 v17, v7, s6, -v4
	v_rndne_f32_e32 v22, v4
	v_fmac_f32_e32 v17, 0x32a5705f, v7
	v_sub_f32_e32 v4, v4, v22
	v_add_f32_e32 v4, v4, v17
	v_exp_f32_e32 v23, v4
	v_cvt_i32_f32_e32 v22, v22
	v_cmp_nlt_f32_e64 s[0:1], s10, v21
	v_sub_f32_e32 v21, v13, v20
	v_mov_b32_e32 v4, 0x7f800000
	v_mul_f32_e32 v13, 0x3fb8aa3b, v21
	v_cndmask_b32_e64 v17, v4, v5, s[0:1]
	v_ldexp_f32 v5, v23, v22
	v_fma_f32 v22, v21, s6, -v13
	v_rndne_f32_e32 v23, v13
	v_fmac_f32_e32 v22, 0x32a5705f, v21
	v_sub_f32_e32 v13, v13, v23
	v_add_f32_e32 v13, v13, v22
	v_exp_f32_e32 v22, v13
	v_cvt_i32_f32_e32 v23, v23
	v_cmp_ngt_f32_e64 s[0:1], s7, v7
	v_cndmask_b32_e64 v5, 0, v5, s[0:1]
	v_cmp_nlt_f32_e64 s[0:1], s10, v7
	v_sub_f32_e32 v7, v10, v20
	v_mul_f32_e32 v10, 0x3fb8aa3b, v7
	v_cndmask_b32_e64 v13, v4, v5, s[0:1]
	v_ldexp_f32 v5, v22, v23
	v_fma_f32 v22, v7, s6, -v10
	v_rndne_f32_e32 v23, v10
	v_fmac_f32_e32 v22, 0x32a5705f, v7
	v_sub_f32_e32 v10, v10, v23
	v_add_f32_e32 v10, v10, v22
	v_exp_f32_e32 v10, v10
	v_cvt_i32_f32_e32 v22, v23
	v_cmp_ngt_f32_e64 s[0:1], s7, v21
	v_sub_f32_e32 v16, v16, v18
	v_cndmask_b32_e64 v5, 0, v5, s[0:1]
	v_cmp_nlt_f32_e64 s[0:1], s10, v21
	v_mul_f32_e32 v21, 0x3fb8aa3b, v16
	v_ldexp_f32 v10, v10, v22
	v_fma_f32 v22, v16, s6, -v21
	v_rndne_f32_e32 v23, v21
	v_fmac_f32_e32 v22, 0x32a5705f, v16
	v_sub_f32_e32 v21, v21, v23
	v_add_f32_e32 v21, v21, v22
	v_exp_f32_e32 v21, v21
	v_cvt_i32_f32_e32 v22, v23
	v_cmp_ngt_f32_e64 s[2:3], s7, v7
	v_cndmask_b32_e64 v10, 0, v10, s[2:3]
	v_cmp_nlt_f32_e64 s[2:3], s10, v7
	v_ldexp_f32 v7, v21, v22
	v_sub_f32_e32 v21, v15, v18
	v_mul_f32_e32 v15, 0x3fb8aa3b, v21
	v_fma_f32 v22, v21, s6, -v15
	v_rndne_f32_e32 v23, v15
	v_fmac_f32_e32 v22, 0x32a5705f, v21
	v_sub_f32_e32 v15, v15, v23
	v_add_f32_e32 v15, v15, v22
	v_exp_f32_e32 v15, v15
	v_cvt_i32_f32_e32 v22, v23
	v_cmp_ngt_f32_e64 s[4:5], s7, v16
	v_cndmask_b32_e64 v7, 0, v7, s[4:5]
	v_cmp_nlt_f32_e64 s[4:5], s10, v16
	v_ldexp_f32 v16, v15, v22
	v_sub_f32_e32 v22, v11, v18
	v_mul_f32_e32 v11, 0x3fb8aa3b, v22
	v_fma_f32 v15, v22, s6, -v11
	v_rndne_f32_e32 v23, v11
	v_fmac_f32_e32 v15, 0x32a5705f, v22
	v_sub_f32_e32 v11, v11, v23
	v_add_f32_e32 v24, v11, v15
	v_add_f32_e32 v11, v17, v13
	v_cndmask_b32_e64 v15, v4, v5, s[0:1]
	v_add_f32_e32 v5, v11, v15
	v_cndmask_b32_e64 v11, v4, v10, s[2:3]
	v_add_f32_e32 v25, v5, v11
	v_exp_f32_e32 v5, v24
	v_cvt_i32_f32_e32 v23, v23
	v_cmp_ngt_f32_e64 s[0:1], s7, v21
	v_cndmask_b32_e64 v10, v4, v7, s[4:5]
	v_cndmask_b32_e64 v7, 0, v16, s[0:1]
	v_cmp_nlt_f32_e64 s[0:1], s10, v21
	v_sub_f32_e32 v9, v9, v18
	v_cndmask_b32_e64 v7, v4, v7, s[0:1]
	v_ldexp_f32 v5, v5, v23
	v_cmp_ngt_f32_e64 s[0:1], s7, v22
	v_mul_f32_e32 v16, 0x3fb8aa3b, v9
	v_cndmask_b32_e64 v5, 0, v5, s[0:1]
	v_cmp_nlt_f32_e64 s[0:1], s10, v22
	v_fma_f32 v21, v9, s6, -v16
	v_rndne_f32_e32 v22, v16
	v_fmac_f32_e32 v21, 0x32a5705f, v9
	v_sub_f32_e32 v16, v16, v22
	v_add_f32_e32 v16, v16, v21
	v_exp_f32_e32 v16, v16
	v_cvt_i32_f32_e32 v21, v22
	v_cndmask_b32_e64 v5, v4, v5, s[0:1]
	v_cmp_ngt_f32_e64 s[0:1], s7, v9
	v_add_f32_e32 v22, v10, v7
	v_ldexp_f32 v16, v16, v21
	v_cndmask_b32_e64 v16, 0, v16, s[0:1]
	v_cmp_nlt_f32_e64 s[0:1], s10, v9
	v_add_f32_e32 v22, v22, v5
	v_cndmask_b32_e64 v4, v4, v16, s[0:1]
	v_add_f32_e32 v9, v22, v4
	ds_bpermute_b32 v16, v12, v25
	ds_bpermute_b32 v12, v12, v9
	s_waitcnt lgkmcnt(1)
	v_add_f32_e32 v16, v25, v16
	s_waitcnt lgkmcnt(0)
	v_add_f32_e32 v9, v9, v12
	ds_bpermute_b32 v12, v6, v16
	ds_bpermute_b32 v6, v6, v9
	s_waitcnt lgkmcnt(1)
	v_add_f32_e32 v12, v16, v12
	s_waitcnt lgkmcnt(0)
	;; [unrolled: 6-line block ×4, first 2 shown]
	v_add_f32_e32 v6, v1, v14
	ds_bpermute_b32 v14, v19, v12
	ds_bpermute_b32 v9, v19, v6
	s_and_saveexec_b64 s[0:1], vcc
	s_cbranch_execz .LBB18_35
; %bb.15:
	v_mov_b32_e32 v16, s9
	v_add_co_u32_e32 v1, vcc, s8, v2
	s_mov_b32 s0, 0xc61c4000
	v_addc_co_u32_e32 v2, vcc, v16, v3, vcc
	v_cmp_neq_f32_e64 s[4:5], s0, v20
	v_cmp_neq_f32_e64 s[0:1], s0, v18
	v_cmp_le_i32_e64 s[2:3], s14, v0
	v_cmp_gt_i32_e32 vcc, s14, v0
	s_and_saveexec_b64 s[6:7], vcc
	s_cbranch_execz .LBB18_25
; %bb.16:
	s_waitcnt lgkmcnt(1)
	v_add_f32_e32 v0, v12, v14
	v_mov_b32_e32 v3, 0
	v_mov_b32_e32 v12, 0
	s_and_saveexec_b64 s[8:9], s[4:5]
	s_cbranch_execz .LBB18_18
; %bb.17:
	v_div_scale_f32 v12, s[10:11], v0, v0, v17
	v_div_scale_f32 v14, vcc, v17, v0, v17
	s_movk_i32 s10, 0x7fff
	v_rcp_f32_e32 v16, v12
	v_fma_f32 v18, -v12, v16, 1.0
	v_fmac_f32_e32 v16, v18, v16
	v_mul_f32_e32 v18, v14, v16
	v_fma_f32 v19, -v12, v18, v14
	v_fmac_f32_e32 v18, v19, v16
	v_fma_f32 v12, -v12, v18, v14
	v_div_fmas_f32 v12, v12, v16, v18
	v_div_fixup_f32 v12, v12, v0, v17
	v_bfe_u32 v14, v12, 16, 1
	v_or_b32_e32 v16, 0x400000, v12
	v_add3_u32 v14, v14, v12, s10
	v_cmp_u_f32_e32 vcc, v12, v12
	v_cndmask_b32_e32 v12, v14, v16, vcc
	v_lshrrev_b32_e32 v12, 16, v12
.LBB18_18:
	s_or_b64 exec, exec, s[8:9]
	s_and_saveexec_b64 s[8:9], s[4:5]
	s_cbranch_execz .LBB18_20
; %bb.19:
	v_div_scale_f32 v3, s[10:11], v0, v0, v13
	v_div_scale_f32 v14, vcc, v13, v0, v13
	s_movk_i32 s10, 0x7fff
	v_rcp_f32_e32 v16, v3
	v_fma_f32 v17, -v3, v16, 1.0
	v_fmac_f32_e32 v16, v17, v16
	v_mul_f32_e32 v17, v14, v16
	v_fma_f32 v18, -v3, v17, v14
	v_fmac_f32_e32 v17, v18, v16
	v_fma_f32 v3, -v3, v17, v14
	v_div_fmas_f32 v3, v3, v16, v17
	v_div_fixup_f32 v3, v3, v0, v13
	v_bfe_u32 v13, v3, 16, 1
	v_or_b32_e32 v14, 0x400000, v3
	v_add3_u32 v13, v13, v3, s10
	v_cmp_u_f32_e32 vcc, v3, v3
	v_cndmask_b32_e32 v3, v13, v14, vcc
	v_lshrrev_b32_e32 v3, 16, v3
.LBB18_20:
	s_or_b64 exec, exec, s[8:9]
	v_mov_b32_e32 v13, 0
	v_mov_b32_e32 v14, 0
	s_and_saveexec_b64 s[8:9], s[4:5]
	s_cbranch_execz .LBB18_22
; %bb.21:
	v_div_scale_f32 v14, s[10:11], v0, v0, v15
	v_div_scale_f32 v16, vcc, v15, v0, v15
	s_movk_i32 s10, 0x7fff
	v_rcp_f32_e32 v17, v14
	v_fma_f32 v18, -v14, v17, 1.0
	v_fmac_f32_e32 v17, v18, v17
	v_mul_f32_e32 v18, v16, v17
	v_fma_f32 v19, -v14, v18, v16
	v_fmac_f32_e32 v18, v19, v17
	v_fma_f32 v14, -v14, v18, v16
	v_div_fmas_f32 v14, v14, v17, v18
	v_div_fixup_f32 v14, v14, v0, v15
	v_bfe_u32 v15, v14, 16, 1
	v_or_b32_e32 v16, 0x400000, v14
	v_add3_u32 v15, v15, v14, s10
	v_cmp_u_f32_e32 vcc, v14, v14
	v_cndmask_b32_e32 v14, v15, v16, vcc
	v_lshrrev_b32_e32 v14, 16, v14
.LBB18_22:
	s_or_b64 exec, exec, s[8:9]
	s_and_saveexec_b64 s[8:9], s[4:5]
	s_cbranch_execz .LBB18_24
; %bb.23:
	v_div_scale_f32 v13, s[4:5], v0, v0, v11
	v_div_scale_f32 v15, vcc, v11, v0, v11
	s_movk_i32 s4, 0x7fff
	v_rcp_f32_e32 v16, v13
	v_fma_f32 v17, -v13, v16, 1.0
	v_fmac_f32_e32 v16, v17, v16
	v_mul_f32_e32 v17, v15, v16
	v_fma_f32 v18, -v13, v17, v15
	v_fmac_f32_e32 v17, v18, v16
	v_fma_f32 v13, -v13, v17, v15
	v_div_fmas_f32 v13, v13, v16, v17
	v_div_fixup_f32 v0, v13, v0, v11
	v_bfe_u32 v11, v0, 16, 1
	v_or_b32_e32 v13, 0x400000, v0
	v_add3_u32 v11, v11, v0, s4
	v_cmp_u_f32_e32 vcc, v0, v0
	v_cndmask_b32_e32 v0, v11, v13, vcc
	v_lshrrev_b32_e32 v13, 16, v0
.LBB18_24:
	s_or_b64 exec, exec, s[8:9]
	s_mov_b32 s4, 0x5040100
	v_perm_b32 v13, v13, v14, s4
	v_perm_b32 v12, v3, v12, s4
	global_store_dwordx2 v[1:2], v[12:13], off
.LBB18_25:
	s_or_b64 exec, exec, s[6:7]
	v_cmp_ne_u32_e32 vcc, 1, v8
	s_xor_b64 s[2:3], s[2:3], -1
	s_and_b64 s[2:3], vcc, s[2:3]
	s_and_b64 exec, exec, s[2:3]
	s_cbranch_execz .LBB18_35
; %bb.26:
	s_waitcnt lgkmcnt(0)
	v_add_f32_e32 v0, v6, v9
	v_mov_b32_e32 v3, 0
	v_mov_b32_e32 v6, 0
	s_and_saveexec_b64 s[2:3], s[0:1]
	s_cbranch_execz .LBB18_28
; %bb.27:
	v_div_scale_f32 v6, s[4:5], v0, v0, v10
	v_div_scale_f32 v8, vcc, v10, v0, v10
	s_movk_i32 s4, 0x7fff
	v_rcp_f32_e32 v9, v6
	v_fma_f32 v11, -v6, v9, 1.0
	v_fmac_f32_e32 v9, v11, v9
	v_mul_f32_e32 v11, v8, v9
	v_fma_f32 v12, -v6, v11, v8
	v_fmac_f32_e32 v11, v12, v9
	v_fma_f32 v6, -v6, v11, v8
	v_div_fmas_f32 v6, v6, v9, v11
	v_div_fixup_f32 v6, v6, v0, v10
	v_bfe_u32 v8, v6, 16, 1
	v_or_b32_e32 v9, 0x400000, v6
	v_add3_u32 v8, v8, v6, s4
	v_cmp_u_f32_e32 vcc, v6, v6
	v_cndmask_b32_e32 v6, v8, v9, vcc
	v_lshrrev_b32_e32 v6, 16, v6
.LBB18_28:
	s_or_b64 exec, exec, s[2:3]
	s_and_saveexec_b64 s[2:3], s[0:1]
	s_cbranch_execz .LBB18_30
; %bb.29:
	v_div_scale_f32 v3, s[4:5], v0, v0, v7
	v_div_scale_f32 v8, vcc, v7, v0, v7
	s_movk_i32 s4, 0x7fff
	v_rcp_f32_e32 v9, v3
	v_fma_f32 v10, -v3, v9, 1.0
	v_fmac_f32_e32 v9, v10, v9
	v_mul_f32_e32 v10, v8, v9
	v_fma_f32 v11, -v3, v10, v8
	v_fmac_f32_e32 v10, v11, v9
	v_fma_f32 v3, -v3, v10, v8
	v_div_fmas_f32 v3, v3, v9, v10
	v_div_fixup_f32 v3, v3, v0, v7
	v_bfe_u32 v7, v3, 16, 1
	v_or_b32_e32 v8, 0x400000, v3
	v_add3_u32 v7, v7, v3, s4
	v_cmp_u_f32_e32 vcc, v3, v3
	v_cndmask_b32_e32 v3, v7, v8, vcc
	v_lshrrev_b32_e32 v3, 16, v3
.LBB18_30:
	s_or_b64 exec, exec, s[2:3]
	v_mov_b32_e32 v7, 0
	v_mov_b32_e32 v8, 0
	s_and_saveexec_b64 s[2:3], s[0:1]
	s_cbranch_execz .LBB18_32
; %bb.31:
	v_div_scale_f32 v8, s[4:5], v0, v0, v5
	v_div_scale_f32 v9, vcc, v5, v0, v5
	s_movk_i32 s4, 0x7fff
	v_rcp_f32_e32 v10, v8
	v_fma_f32 v11, -v8, v10, 1.0
	v_fmac_f32_e32 v10, v11, v10
	v_mul_f32_e32 v11, v9, v10
	v_fma_f32 v12, -v8, v11, v9
	v_fmac_f32_e32 v11, v12, v10
	v_fma_f32 v8, -v8, v11, v9
	v_div_fmas_f32 v8, v8, v10, v11
	v_div_fixup_f32 v5, v8, v0, v5
	v_bfe_u32 v8, v5, 16, 1
	v_or_b32_e32 v9, 0x400000, v5
	v_add3_u32 v8, v8, v5, s4
	v_cmp_u_f32_e32 vcc, v5, v5
	v_cndmask_b32_e32 v5, v8, v9, vcc
	v_lshrrev_b32_e32 v8, 16, v5
.LBB18_32:
	s_or_b64 exec, exec, s[2:3]
	s_and_saveexec_b64 s[2:3], s[0:1]
	s_cbranch_execz .LBB18_34
; %bb.33:
	v_div_scale_f32 v5, s[0:1], v0, v0, v4
	v_div_scale_f32 v7, vcc, v4, v0, v4
	s_movk_i32 s0, 0x7fff
	v_rcp_f32_e32 v9, v5
	v_fma_f32 v10, -v5, v9, 1.0
	v_fmac_f32_e32 v9, v10, v9
	v_mul_f32_e32 v10, v7, v9
	v_fma_f32 v11, -v5, v10, v7
	v_fmac_f32_e32 v10, v11, v9
	v_fma_f32 v5, -v5, v10, v7
	v_div_fmas_f32 v5, v5, v9, v10
	v_div_fixup_f32 v0, v5, v0, v4
	v_bfe_u32 v4, v0, 16, 1
	v_or_b32_e32 v5, 0x400000, v0
	v_add3_u32 v4, v4, v0, s0
	v_cmp_u_f32_e32 vcc, v0, v0
	v_cndmask_b32_e32 v0, v4, v5, vcc
	v_lshrrev_b32_e32 v7, 16, v0
.LBB18_34:
	s_or_b64 exec, exec, s[2:3]
	s_mov_b32 s15, 0
	s_lshl_b64 s[0:1], s[14:15], 1
	v_mov_b32_e32 v4, s1
	v_add_co_u32_e32 v0, vcc, s0, v1
	s_mov_b32 s0, 0x5040100
	v_addc_co_u32_e32 v1, vcc, v2, v4, vcc
	v_perm_b32 v4, v7, v8, s0
	v_perm_b32 v3, v3, v6, s0
	global_store_dwordx2 v[0:1], v[3:4], off
.LBB18_35:
	s_endpgm
	.section	.rodata,"a",@progbits
	.p2align	6, 0x0
	.amdhsa_kernel _Z34scaled_masked_softmax_warp_forwardI14__hip_bfloat16S0_fLi7EEvPT0_PKT_PKhT1_iii
		.amdhsa_group_segment_fixed_size 0
		.amdhsa_private_segment_fixed_size 0
		.amdhsa_kernarg_size 296
		.amdhsa_user_sgpr_count 6
		.amdhsa_user_sgpr_private_segment_buffer 1
		.amdhsa_user_sgpr_dispatch_ptr 0
		.amdhsa_user_sgpr_queue_ptr 0
		.amdhsa_user_sgpr_kernarg_segment_ptr 1
		.amdhsa_user_sgpr_dispatch_id 0
		.amdhsa_user_sgpr_flat_scratch_init 0
		.amdhsa_user_sgpr_private_segment_size 0
		.amdhsa_uses_dynamic_stack 0
		.amdhsa_system_sgpr_private_segment_wavefront_offset 0
		.amdhsa_system_sgpr_workgroup_id_x 1
		.amdhsa_system_sgpr_workgroup_id_y 1
		.amdhsa_system_sgpr_workgroup_id_z 1
		.amdhsa_system_sgpr_workgroup_info 0
		.amdhsa_system_vgpr_workitem_id 1
		.amdhsa_next_free_vgpr 26
		.amdhsa_next_free_sgpr 18
		.amdhsa_reserve_vcc 1
		.amdhsa_reserve_flat_scratch 0
		.amdhsa_float_round_mode_32 0
		.amdhsa_float_round_mode_16_64 0
		.amdhsa_float_denorm_mode_32 3
		.amdhsa_float_denorm_mode_16_64 3
		.amdhsa_dx10_clamp 1
		.amdhsa_ieee_mode 1
		.amdhsa_fp16_overflow 0
		.amdhsa_exception_fp_ieee_invalid_op 0
		.amdhsa_exception_fp_denorm_src 0
		.amdhsa_exception_fp_ieee_div_zero 0
		.amdhsa_exception_fp_ieee_overflow 0
		.amdhsa_exception_fp_ieee_underflow 0
		.amdhsa_exception_fp_ieee_inexact 0
		.amdhsa_exception_int_div_zero 0
	.end_amdhsa_kernel
	.section	.text._Z34scaled_masked_softmax_warp_forwardI14__hip_bfloat16S0_fLi7EEvPT0_PKT_PKhT1_iii,"axG",@progbits,_Z34scaled_masked_softmax_warp_forwardI14__hip_bfloat16S0_fLi7EEvPT0_PKT_PKhT1_iii,comdat
.Lfunc_end18:
	.size	_Z34scaled_masked_softmax_warp_forwardI14__hip_bfloat16S0_fLi7EEvPT0_PKT_PKhT1_iii, .Lfunc_end18-_Z34scaled_masked_softmax_warp_forwardI14__hip_bfloat16S0_fLi7EEvPT0_PKT_PKhT1_iii
                                        ; -- End function
	.set _Z34scaled_masked_softmax_warp_forwardI14__hip_bfloat16S0_fLi7EEvPT0_PKT_PKhT1_iii.num_vgpr, 26
	.set _Z34scaled_masked_softmax_warp_forwardI14__hip_bfloat16S0_fLi7EEvPT0_PKT_PKhT1_iii.num_agpr, 0
	.set _Z34scaled_masked_softmax_warp_forwardI14__hip_bfloat16S0_fLi7EEvPT0_PKT_PKhT1_iii.numbered_sgpr, 18
	.set _Z34scaled_masked_softmax_warp_forwardI14__hip_bfloat16S0_fLi7EEvPT0_PKT_PKhT1_iii.num_named_barrier, 0
	.set _Z34scaled_masked_softmax_warp_forwardI14__hip_bfloat16S0_fLi7EEvPT0_PKT_PKhT1_iii.private_seg_size, 0
	.set _Z34scaled_masked_softmax_warp_forwardI14__hip_bfloat16S0_fLi7EEvPT0_PKT_PKhT1_iii.uses_vcc, 1
	.set _Z34scaled_masked_softmax_warp_forwardI14__hip_bfloat16S0_fLi7EEvPT0_PKT_PKhT1_iii.uses_flat_scratch, 0
	.set _Z34scaled_masked_softmax_warp_forwardI14__hip_bfloat16S0_fLi7EEvPT0_PKT_PKhT1_iii.has_dyn_sized_stack, 0
	.set _Z34scaled_masked_softmax_warp_forwardI14__hip_bfloat16S0_fLi7EEvPT0_PKT_PKhT1_iii.has_recursion, 0
	.set _Z34scaled_masked_softmax_warp_forwardI14__hip_bfloat16S0_fLi7EEvPT0_PKT_PKhT1_iii.has_indirect_call, 0
	.section	.AMDGPU.csdata,"",@progbits
; Kernel info:
; codeLenInByte = 3400
; TotalNumSgprs: 22
; NumVgprs: 26
; ScratchSize: 0
; MemoryBound: 0
; FloatMode: 240
; IeeeMode: 1
; LDSByteSize: 0 bytes/workgroup (compile time only)
; SGPRBlocks: 2
; VGPRBlocks: 6
; NumSGPRsForWavesPerEU: 22
; NumVGPRsForWavesPerEU: 26
; Occupancy: 9
; WaveLimiterHint : 0
; COMPUTE_PGM_RSRC2:SCRATCH_EN: 0
; COMPUTE_PGM_RSRC2:USER_SGPR: 6
; COMPUTE_PGM_RSRC2:TRAP_HANDLER: 0
; COMPUTE_PGM_RSRC2:TGID_X_EN: 1
; COMPUTE_PGM_RSRC2:TGID_Y_EN: 1
; COMPUTE_PGM_RSRC2:TGID_Z_EN: 1
; COMPUTE_PGM_RSRC2:TIDIG_COMP_CNT: 1
	.section	.text._Z34scaled_masked_softmax_warp_forwardI14__hip_bfloat16S0_fLi8EEvPT0_PKT_PKhT1_iii,"axG",@progbits,_Z34scaled_masked_softmax_warp_forwardI14__hip_bfloat16S0_fLi8EEvPT0_PKT_PKhT1_iii,comdat
	.protected	_Z34scaled_masked_softmax_warp_forwardI14__hip_bfloat16S0_fLi8EEvPT0_PKT_PKhT1_iii ; -- Begin function _Z34scaled_masked_softmax_warp_forwardI14__hip_bfloat16S0_fLi8EEvPT0_PKT_PKhT1_iii
	.globl	_Z34scaled_masked_softmax_warp_forwardI14__hip_bfloat16S0_fLi8EEvPT0_PKT_PKhT1_iii
	.p2align	8
	.type	_Z34scaled_masked_softmax_warp_forwardI14__hip_bfloat16S0_fLi8EEvPT0_PKT_PKhT1_iii,@function
_Z34scaled_masked_softmax_warp_forwardI14__hip_bfloat16S0_fLi8EEvPT0_PKT_PKhT1_iii: ; @_Z34scaled_masked_softmax_warp_forwardI14__hip_bfloat16S0_fLi8EEvPT0_PKT_PKhT1_iii
; %bb.0:
	s_load_dword s2, s[4:5], 0x34
	s_load_dwordx4 s[12:15], s[4:5], 0x18
	s_load_dwordx2 s[0:1], s[4:5], 0x28
	s_mov_b32 s9, s6
	s_waitcnt lgkmcnt(0)
	s_lshr_b32 s2, s2, 16
	s_cmp_eq_u32 s15, 1
	s_cbranch_scc1 .LBB19_2
; %bb.1:
	s_mul_i32 s3, s0, s8
	s_add_i32 s9, s3, s6
.LBB19_2:
	s_mul_i32 s1, s1, s8
	s_add_i32 s1, s1, s7
	s_mul_i32 s0, s0, s1
	s_and_b32 s10, 0xffff, s2
	s_add_i32 s0, s0, s6
	s_mul_i32 s0, s0, s10
	v_add_u32_e32 v4, s0, v1
	v_lshlrev_b32_e32 v0, 2, v0
	v_mad_u64_u32 v[2:3], s[0:1], v4, s14, v[0:1]
	s_load_dwordx4 s[16:19], s[4:5], 0x0
	s_load_dwordx2 s[6:7], s[4:5], 0x10
	v_cmp_gt_i32_e32 vcc, s13, v4
	v_ashrrev_i32_e32 v3, 31, v2
	v_lshlrev_b64 v[2:3], 1, v[2:3]
                                        ; implicit-def: $vgpr13
                                        ; implicit-def: $vgpr12
                                        ; implicit-def: $vgpr10
                                        ; implicit-def: $vgpr9
                                        ; implicit-def: $vgpr14
                                        ; implicit-def: $vgpr15
                                        ; implicit-def: $vgpr11
                                        ; implicit-def: $vgpr8
	s_and_saveexec_b64 s[2:3], vcc
	s_cbranch_execz .LBB19_12
; %bb.3:
	s_mul_i32 s0, s9, s10
	v_add_u32_e32 v1, s0, v1
	v_mad_u64_u32 v[6:7], s[0:1], v1, s14, v[0:1]
	s_waitcnt lgkmcnt(0)
	v_mov_b32_e32 v5, s19
	v_add_co_u32_e64 v4, s[0:1], s18, v2
	v_addc_co_u32_e64 v5, s[0:1], v5, v3, s[0:1]
	v_ashrrev_i32_e32 v1, 31, v6
	v_mov_b32_e32 v7, s7
	v_add_co_u32_e64 v6, s[0:1], s6, v6
	v_addc_co_u32_e64 v7, s[0:1], v7, v1, s[0:1]
	v_cmp_gt_i32_e64 s[0:1], s14, v0
	v_mov_b32_e32 v13, 0xff800000
	v_mov_b32_e32 v12, 0xff800000
	;; [unrolled: 1-line block ×4, first 2 shown]
	s_and_saveexec_b64 s[4:5], s[0:1]
	s_cbranch_execz .LBB19_7
; %bb.4:
	global_load_dword v1, v[6:7], off
	global_load_dword v10, v[4:5], off offset:2
	global_load_ushort v8, v[4:5], off offset:6
	v_mov_b32_e32 v9, 1
	s_movk_i32 s6, 0xff
	v_mov_b32_e32 v11, 0xc61c4000
	v_mov_b32_e32 v13, 0xc61c4000
	s_waitcnt vmcnt(2)
	v_lshrrev_b32_e32 v12, 8, v1
	v_cmp_ne_u16_sdwa s[8:9], v1, v9 src0_sel:BYTE_0 src1_sel:DWORD
	s_and_saveexec_b64 s[0:1], s[8:9]
	s_cbranch_execz .LBB19_6
; %bb.5:
	global_load_ushort v13, v[4:5], off
	s_waitcnt vmcnt(0)
	v_lshlrev_b32_e32 v13, 16, v13
	v_mul_f32_e32 v13, s12, v13
.LBB19_6:
	s_or_b64 exec, exec, s[0:1]
	s_waitcnt vmcnt(1)
	v_lshlrev_b32_e32 v15, 16, v10
	v_and_b32_sdwa v14, v1, s6 dst_sel:DWORD dst_unused:UNUSED_PAD src0_sel:WORD_1 src1_sel:DWORD
	v_mul_f32_e32 v15, s12, v15
	v_cmp_ne_u16_sdwa s[0:1], v12, v9 src0_sel:BYTE_0 src1_sel:DWORD
	v_and_b32_e32 v10, 0xffff0000, v10
	v_cndmask_b32_e64 v12, v11, v15, s[0:1]
	v_mul_f32_e32 v10, s12, v10
	v_cmp_ne_u16_e64 s[0:1], 1, v14
	s_waitcnt vmcnt(0)
	v_lshlrev_b32_e32 v8, 16, v8
	v_cndmask_b32_e64 v10, v11, v10, s[0:1]
	v_mul_f32_e32 v8, s12, v8
	v_cmp_ne_u16_sdwa s[0:1], v1, v9 src0_sel:BYTE_3 src1_sel:DWORD
	v_cndmask_b32_e64 v9, v11, v8, s[0:1]
.LBB19_7:
	s_or_b64 exec, exec, s[4:5]
	v_add_u32_e32 v1, 0x80, v0
	v_cmp_gt_i32_e64 s[0:1], s14, v1
	v_mov_b32_e32 v14, 0xff800000
	v_mov_b32_e32 v15, 0xff800000
	;; [unrolled: 1-line block ×4, first 2 shown]
	s_and_saveexec_b64 s[4:5], s[0:1]
	s_cbranch_execz .LBB19_11
; %bb.8:
	global_load_dword v1, v[6:7], off offset:128
	global_load_dword v11, v[4:5], off offset:258
	global_load_ushort v8, v[4:5], off offset:262
	v_mov_b32_e32 v6, 1
	s_movk_i32 s6, 0xff
	v_mov_b32_e32 v7, 0xc61c4000
	v_mov_b32_e32 v14, 0xc61c4000
	s_waitcnt vmcnt(2)
	v_lshrrev_b32_e32 v15, 8, v1
	v_cmp_ne_u16_sdwa s[8:9], v1, v6 src0_sel:BYTE_0 src1_sel:DWORD
	s_and_saveexec_b64 s[0:1], s[8:9]
	s_cbranch_execz .LBB19_10
; %bb.9:
	global_load_ushort v4, v[4:5], off offset:256
	s_waitcnt vmcnt(0)
	v_lshlrev_b32_e32 v4, 16, v4
	v_mul_f32_e32 v14, s12, v4
.LBB19_10:
	s_or_b64 exec, exec, s[0:1]
	s_waitcnt vmcnt(1)
	v_lshlrev_b32_e32 v5, 16, v11
	v_mul_f32_e32 v5, s12, v5
	v_cmp_ne_u16_sdwa s[0:1], v15, v6 src0_sel:BYTE_0 src1_sel:DWORD
	v_and_b32_sdwa v4, v1, s6 dst_sel:DWORD dst_unused:UNUSED_PAD src0_sel:WORD_1 src1_sel:DWORD
	v_cndmask_b32_e64 v15, v7, v5, s[0:1]
	v_and_b32_e32 v5, 0xffff0000, v11
	v_mul_f32_e32 v5, s12, v5
	v_cmp_ne_u16_e64 s[0:1], 1, v4
	s_waitcnt vmcnt(0)
	v_lshlrev_b32_e32 v4, 16, v8
	v_cndmask_b32_e64 v11, v7, v5, s[0:1]
	v_mul_f32_e32 v4, s12, v4
	v_cmp_ne_u16_sdwa s[0:1], v1, v6 src0_sel:BYTE_3 src1_sel:DWORD
	v_cndmask_b32_e64 v8, v7, v4, s[0:1]
.LBB19_11:
	s_or_b64 exec, exec, s[4:5]
.LBB19_12:
	s_or_b64 exec, exec, s[2:3]
	v_cmp_gt_f32_e64 s[0:1], v13, v12
	v_cndmask_b32_e64 v1, v12, v13, s[0:1]
	v_cmp_gt_f32_e64 s[0:1], v1, v10
	v_cndmask_b32_e64 v1, v10, v1, s[0:1]
	;; [unrolled: 2-line block ×7, first 2 shown]
	v_mbcnt_lo_u32_b32 v1, -1, 0
	v_mbcnt_hi_u32_b32 v6, -1, v1
	v_and_b32_e32 v1, 0x60, v6
	v_add_u32_e32 v7, 32, v1
	v_xor_b32_e32 v1, 16, v6
	v_cmp_lt_i32_e64 s[0:1], v1, v7
	v_cndmask_b32_e64 v1, v6, v1, s[0:1]
	v_lshlrev_b32_e32 v1, 2, v1
	ds_bpermute_b32 v5, v1, v4
	s_mov_b32 s10, 0x3fb8aa3b
	s_mov_b32 s11, 0xc2ce8ed0
	;; [unrolled: 1-line block ×3, first 2 shown]
	s_waitcnt lgkmcnt(0)
	v_cmp_lt_f32_e64 s[0:1], v4, v5
	v_cndmask_b32_e64 v4, v4, v5, s[0:1]
	v_xor_b32_e32 v5, 8, v6
	v_cmp_lt_i32_e64 s[0:1], v5, v7
	v_cndmask_b32_e64 v5, v6, v5, s[0:1]
	v_lshlrev_b32_e32 v5, 2, v5
	ds_bpermute_b32 v16, v5, v4
	s_waitcnt lgkmcnt(0)
	v_cmp_lt_f32_e64 s[0:1], v4, v16
	v_cndmask_b32_e64 v4, v4, v16, s[0:1]
	v_xor_b32_e32 v16, 4, v6
	v_cmp_lt_i32_e64 s[0:1], v16, v7
	v_cndmask_b32_e64 v16, v6, v16, s[0:1]
	v_lshlrev_b32_e32 v16, 2, v16
	ds_bpermute_b32 v17, v16, v4
	;; [unrolled: 8-line block ×4, first 2 shown]
	s_waitcnt lgkmcnt(0)
	v_cmp_lt_f32_e64 s[0:1], v4, v6
	v_cndmask_b32_e64 v17, v4, v6, s[0:1]
	v_sub_f32_e32 v4, v13, v17
	v_mul_f32_e32 v6, 0x3fb8aa3b, v4
	v_fma_f32 v7, v4, s10, -v6
	v_rndne_f32_e32 v13, v6
	v_fmac_f32_e32 v7, 0x32a5705f, v4
	v_sub_f32_e32 v6, v6, v13
	v_add_f32_e32 v6, v6, v7
	v_exp_f32_e32 v6, v6
	v_cvt_i32_f32_e32 v7, v13
	v_sub_f32_e32 v11, v11, v17
	v_cmp_ngt_f32_e64 s[8:9], s11, v4
	v_ldexp_f32 v6, v6, v7
	v_sub_f32_e32 v7, v12, v17
	v_mul_f32_e32 v12, 0x3fb8aa3b, v7
	v_fma_f32 v13, v7, s10, -v12
	v_rndne_f32_e32 v20, v12
	v_fmac_f32_e32 v13, 0x32a5705f, v7
	v_sub_f32_e32 v12, v12, v20
	v_add_f32_e32 v12, v12, v13
	v_exp_f32_e32 v12, v12
	v_cvt_i32_f32_e32 v13, v20
	v_cmp_ngt_f32_e64 s[0:1], s11, v7
	v_mov_b32_e32 v20, 0x7f800000
	v_cndmask_b32_e64 v6, 0, v6, s[8:9]
	v_ldexp_f32 v12, v12, v13
	v_cndmask_b32_e64 v12, 0, v12, s[0:1]
	v_cmp_nlt_f32_e64 s[0:1], s12, v7
	v_sub_f32_e32 v7, v10, v17
	v_mul_f32_e32 v10, 0x3fb8aa3b, v7
	v_fma_f32 v13, v7, s10, -v10
	v_rndne_f32_e32 v21, v10
	v_fmac_f32_e32 v13, 0x32a5705f, v7
	v_sub_f32_e32 v10, v10, v21
	v_add_f32_e32 v10, v10, v13
	v_exp_f32_e32 v10, v10
	v_cvt_i32_f32_e32 v13, v21
	v_cmp_ngt_f32_e64 s[2:3], s11, v7
	v_cmp_nlt_f32_e64 s[8:9], s12, v4
	v_ldexp_f32 v10, v10, v13
	v_cndmask_b32_e64 v10, 0, v10, s[2:3]
	v_cmp_nlt_f32_e64 s[2:3], s12, v7
	v_sub_f32_e32 v7, v9, v17
	v_mul_f32_e32 v9, 0x3fb8aa3b, v7
	v_fma_f32 v13, v7, s10, -v9
	v_rndne_f32_e32 v21, v9
	v_fmac_f32_e32 v13, 0x32a5705f, v7
	v_sub_f32_e32 v9, v9, v21
	v_add_f32_e32 v9, v9, v13
	v_exp_f32_e32 v9, v9
	v_cvt_i32_f32_e32 v13, v21
	v_cmp_ngt_f32_e64 s[4:5], s11, v7
	v_cndmask_b32_e64 v10, v20, v10, s[2:3]
	v_ldexp_f32 v9, v9, v13
	v_cndmask_b32_e64 v9, 0, v9, s[4:5]
	v_cmp_nlt_f32_e64 s[4:5], s12, v7
	v_sub_f32_e32 v7, v14, v17
	v_mul_f32_e32 v13, 0x3fb8aa3b, v7
	v_fma_f32 v14, v7, s10, -v13
	v_rndne_f32_e32 v21, v13
	v_fmac_f32_e32 v14, 0x32a5705f, v7
	v_sub_f32_e32 v13, v13, v21
	v_add_f32_e32 v13, v13, v14
	v_exp_f32_e32 v13, v13
	v_cvt_i32_f32_e32 v14, v21
	v_cmp_ngt_f32_e64 s[6:7], s11, v7
	v_cndmask_b32_e64 v9, v20, v9, s[4:5]
	v_ldexp_f32 v13, v13, v14
	v_cndmask_b32_e64 v21, 0, v13, s[6:7]
	v_cmp_nlt_f32_e64 s[6:7], s12, v7
	v_sub_f32_e32 v7, v15, v17
	v_mul_f32_e32 v13, 0x3fb8aa3b, v7
	v_fma_f32 v14, v7, s10, -v13
	v_rndne_f32_e32 v15, v13
	v_fmac_f32_e32 v14, 0x32a5705f, v7
	v_sub_f32_e32 v13, v13, v15
	v_add_f32_e32 v13, v13, v14
	v_exp_f32_e32 v13, v13
	v_cvt_i32_f32_e32 v14, v15
	v_ldexp_f32 v15, v13, v14
	v_mul_f32_e32 v13, 0x3fb8aa3b, v11
	v_fma_f32 v14, v11, s10, -v13
	v_rndne_f32_e32 v22, v13
	v_fmac_f32_e32 v14, 0x32a5705f, v11
	v_sub_f32_e32 v13, v13, v22
	v_add_f32_e32 v23, v13, v14
	v_cndmask_b32_e64 v14, v20, v6, s[8:9]
	v_exp_f32_e32 v4, v23
	v_cvt_i32_f32_e32 v6, v22
	v_cmp_ngt_f32_e64 s[8:9], s11, v11
	v_cndmask_b32_e64 v13, v20, v12, s[0:1]
	v_cmp_ngt_f32_e64 s[0:1], s11, v7
	v_ldexp_f32 v4, v4, v6
	v_cndmask_b32_e64 v4, 0, v4, s[8:9]
	v_cmp_nlt_f32_e64 s[8:9], s12, v11
	v_sub_f32_e32 v11, v8, v17
	v_mul_f32_e32 v6, 0x3fb8aa3b, v11
	v_cndmask_b32_e64 v12, 0, v15, s[0:1]
	v_cmp_nlt_f32_e64 s[0:1], s12, v7
	v_fma_f32 v7, v11, s10, -v6
	v_rndne_f32_e32 v15, v6
	v_fmac_f32_e32 v7, 0x32a5705f, v11
	v_sub_f32_e32 v6, v6, v15
	v_add_f32_e32 v6, v6, v7
	v_add_f32_e32 v7, v14, v13
	;; [unrolled: 1-line block ×4, first 2 shown]
	v_cndmask_b32_e64 v8, v20, v21, s[6:7]
	v_add_f32_e32 v21, v7, v8
	v_cndmask_b32_e64 v7, v20, v12, s[0:1]
	v_exp_f32_e32 v12, v6
	v_cvt_i32_f32_e32 v15, v15
	v_cndmask_b32_e64 v6, v20, v4, s[8:9]
	v_cmp_ngt_f32_e64 s[0:1], s11, v11
	v_add_f32_e32 v21, v21, v7
	v_ldexp_f32 v4, v12, v15
	v_cndmask_b32_e64 v4, 0, v4, s[0:1]
	v_cmp_nlt_f32_e64 s[0:1], s12, v11
	v_add_f32_e32 v21, v21, v6
	v_cndmask_b32_e64 v4, v20, v4, s[0:1]
	v_add_f32_e32 v11, v21, v4
	ds_bpermute_b32 v1, v1, v11
	v_cmp_gt_i32_e64 s[0:1], s14, v0
	s_and_b64 s[0:1], vcc, s[0:1]
	s_waitcnt lgkmcnt(0)
	v_add_f32_e32 v1, v11, v1
	ds_bpermute_b32 v5, v5, v1
	s_waitcnt lgkmcnt(0)
	v_add_f32_e32 v1, v1, v5
	ds_bpermute_b32 v5, v16, v1
	s_waitcnt lgkmcnt(0)
	v_add_f32_e32 v1, v1, v5
	ds_bpermute_b32 v5, v18, v1
	s_waitcnt lgkmcnt(0)
	v_add_f32_e32 v1, v1, v5
	ds_bpermute_b32 v5, v19, v1
	s_and_saveexec_b64 s[2:3], s[0:1]
	s_cbranch_execz .LBB19_31
; %bb.13:
	s_mov_b32 s0, 0xc61c4000
	v_cmp_neq_f32_e64 s[0:1], s0, v17
	s_waitcnt lgkmcnt(0)
	v_add_f32_e32 v5, v1, v5
	v_mov_b32_e32 v11, 0
	v_mov_b32_e32 v12, 0
	s_and_saveexec_b64 s[2:3], s[0:1]
	s_cbranch_execz .LBB19_15
; %bb.14:
	v_div_scale_f32 v1, s[4:5], v5, v5, v14
	v_div_scale_f32 v12, vcc, v14, v5, v14
	s_movk_i32 s4, 0x7fff
	v_rcp_f32_e32 v15, v1
	v_fma_f32 v16, -v1, v15, 1.0
	v_fmac_f32_e32 v15, v16, v15
	v_mul_f32_e32 v16, v12, v15
	v_fma_f32 v17, -v1, v16, v12
	v_fmac_f32_e32 v16, v17, v15
	v_fma_f32 v1, -v1, v16, v12
	v_div_fmas_f32 v1, v1, v15, v16
	v_div_fixup_f32 v1, v1, v5, v14
	v_bfe_u32 v12, v1, 16, 1
	v_or_b32_e32 v14, 0x400000, v1
	v_add3_u32 v12, v12, v1, s4
	v_cmp_u_f32_e32 vcc, v1, v1
	v_cndmask_b32_e32 v1, v12, v14, vcc
	v_lshrrev_b32_e32 v12, 16, v1
.LBB19_15:
	s_or_b64 exec, exec, s[2:3]
	s_and_saveexec_b64 s[2:3], s[0:1]
	s_cbranch_execz .LBB19_17
; %bb.16:
	v_div_scale_f32 v1, s[4:5], v5, v5, v13
	v_div_scale_f32 v11, vcc, v13, v5, v13
	s_movk_i32 s4, 0x7fff
	v_rcp_f32_e32 v14, v1
	v_fma_f32 v15, -v1, v14, 1.0
	v_fmac_f32_e32 v14, v15, v14
	v_mul_f32_e32 v15, v11, v14
	v_fma_f32 v16, -v1, v15, v11
	v_fmac_f32_e32 v15, v16, v14
	v_fma_f32 v1, -v1, v15, v11
	v_div_fmas_f32 v1, v1, v14, v15
	v_div_fixup_f32 v1, v1, v5, v13
	v_bfe_u32 v11, v1, 16, 1
	v_or_b32_e32 v13, 0x400000, v1
	v_add3_u32 v11, v11, v1, s4
	v_cmp_u_f32_e32 vcc, v1, v1
	v_cndmask_b32_e32 v1, v11, v13, vcc
	v_lshrrev_b32_e32 v11, 16, v1
.LBB19_17:
	s_or_b64 exec, exec, s[2:3]
	v_mov_b32_e32 v13, 0
	v_mov_b32_e32 v14, 0
	s_and_saveexec_b64 s[2:3], s[0:1]
	s_cbranch_execz .LBB19_19
; %bb.18:
	v_div_scale_f32 v1, s[4:5], v5, v5, v10
	v_div_scale_f32 v14, vcc, v10, v5, v10
	s_movk_i32 s4, 0x7fff
	v_rcp_f32_e32 v15, v1
	v_fma_f32 v16, -v1, v15, 1.0
	v_fmac_f32_e32 v15, v16, v15
	v_mul_f32_e32 v16, v14, v15
	v_fma_f32 v17, -v1, v16, v14
	v_fmac_f32_e32 v16, v17, v15
	v_fma_f32 v1, -v1, v16, v14
	v_div_fmas_f32 v1, v1, v15, v16
	v_div_fixup_f32 v1, v1, v5, v10
	v_bfe_u32 v10, v1, 16, 1
	v_or_b32_e32 v14, 0x400000, v1
	v_add3_u32 v10, v10, v1, s4
	v_cmp_u_f32_e32 vcc, v1, v1
	v_cndmask_b32_e32 v1, v10, v14, vcc
	v_lshrrev_b32_e32 v14, 16, v1
.LBB19_19:
	s_or_b64 exec, exec, s[2:3]
	s_and_saveexec_b64 s[2:3], s[0:1]
	s_cbranch_execz .LBB19_21
; %bb.20:
	v_div_scale_f32 v1, s[4:5], v5, v5, v9
	v_div_scale_f32 v10, vcc, v9, v5, v9
	s_movk_i32 s4, 0x7fff
	v_rcp_f32_e32 v13, v1
	v_fma_f32 v15, -v1, v13, 1.0
	v_fmac_f32_e32 v13, v15, v13
	v_mul_f32_e32 v15, v10, v13
	v_fma_f32 v16, -v1, v15, v10
	v_fmac_f32_e32 v15, v16, v13
	v_fma_f32 v1, -v1, v15, v10
	v_div_fmas_f32 v1, v1, v13, v15
	v_div_fixup_f32 v1, v1, v5, v9
	v_bfe_u32 v9, v1, 16, 1
	v_or_b32_e32 v10, 0x400000, v1
	v_add3_u32 v9, v9, v1, s4
	v_cmp_u_f32_e32 vcc, v1, v1
	v_cndmask_b32_e32 v1, v9, v10, vcc
	v_lshrrev_b32_e32 v13, 16, v1
.LBB19_21:
	s_or_b64 exec, exec, s[2:3]
	v_mov_b32_e32 v9, s17
	v_add_co_u32_e32 v1, vcc, s16, v2
	v_addc_co_u32_e32 v2, vcc, v9, v3, vcc
	s_mov_b32 s2, 0x5040100
	v_add_u32_e32 v0, 0x80, v0
	v_perm_b32 v10, v13, v14, s2
	v_perm_b32 v9, v11, v12, s2
	v_cmp_gt_u32_e32 vcc, s14, v0
	global_store_dwordx2 v[1:2], v[9:10], off
	s_and_b64 exec, exec, vcc
	s_cbranch_execz .LBB19_31
; %bb.22:
	v_mov_b32_e32 v0, 0
	v_mov_b32_e32 v3, 0
	s_and_saveexec_b64 s[2:3], s[0:1]
	s_cbranch_execz .LBB19_24
; %bb.23:
	v_div_scale_f32 v3, s[4:5], v5, v5, v8
	v_div_scale_f32 v9, vcc, v8, v5, v8
	s_movk_i32 s4, 0x7fff
	v_rcp_f32_e32 v10, v3
	v_fma_f32 v11, -v3, v10, 1.0
	v_fmac_f32_e32 v10, v11, v10
	v_mul_f32_e32 v11, v9, v10
	v_fma_f32 v12, -v3, v11, v9
	v_fmac_f32_e32 v11, v12, v10
	v_fma_f32 v3, -v3, v11, v9
	v_div_fmas_f32 v3, v3, v10, v11
	v_div_fixup_f32 v3, v3, v5, v8
	v_bfe_u32 v8, v3, 16, 1
	v_or_b32_e32 v9, 0x400000, v3
	v_add3_u32 v8, v8, v3, s4
	v_cmp_u_f32_e32 vcc, v3, v3
	v_cndmask_b32_e32 v3, v8, v9, vcc
	v_lshrrev_b32_e32 v3, 16, v3
.LBB19_24:
	s_or_b64 exec, exec, s[2:3]
	s_and_saveexec_b64 s[2:3], s[0:1]
	s_cbranch_execz .LBB19_26
; %bb.25:
	v_div_scale_f32 v0, s[4:5], v5, v5, v7
	v_div_scale_f32 v8, vcc, v7, v5, v7
	s_movk_i32 s4, 0x7fff
	v_rcp_f32_e32 v9, v0
	v_fma_f32 v10, -v0, v9, 1.0
	v_fmac_f32_e32 v9, v10, v9
	v_mul_f32_e32 v10, v8, v9
	v_fma_f32 v11, -v0, v10, v8
	v_fmac_f32_e32 v10, v11, v9
	v_fma_f32 v0, -v0, v10, v8
	v_div_fmas_f32 v0, v0, v9, v10
	v_div_fixup_f32 v0, v0, v5, v7
	v_bfe_u32 v7, v0, 16, 1
	v_or_b32_e32 v8, 0x400000, v0
	v_add3_u32 v7, v7, v0, s4
	v_cmp_u_f32_e32 vcc, v0, v0
	v_cndmask_b32_e32 v0, v7, v8, vcc
	v_lshrrev_b32_e32 v0, 16, v0
.LBB19_26:
	s_or_b64 exec, exec, s[2:3]
	v_mov_b32_e32 v7, 0
	v_mov_b32_e32 v8, 0
	s_and_saveexec_b64 s[2:3], s[0:1]
	s_cbranch_execz .LBB19_28
; %bb.27:
	v_div_scale_f32 v8, s[4:5], v5, v5, v6
	v_div_scale_f32 v9, vcc, v6, v5, v6
	s_movk_i32 s4, 0x7fff
	v_rcp_f32_e32 v10, v8
	v_fma_f32 v11, -v8, v10, 1.0
	v_fmac_f32_e32 v10, v11, v10
	v_mul_f32_e32 v11, v9, v10
	v_fma_f32 v12, -v8, v11, v9
	v_fmac_f32_e32 v11, v12, v10
	v_fma_f32 v8, -v8, v11, v9
	v_div_fmas_f32 v8, v8, v10, v11
	v_div_fixup_f32 v6, v8, v5, v6
	v_bfe_u32 v8, v6, 16, 1
	v_or_b32_e32 v9, 0x400000, v6
	v_add3_u32 v8, v8, v6, s4
	v_cmp_u_f32_e32 vcc, v6, v6
	v_cndmask_b32_e32 v6, v8, v9, vcc
	v_lshrrev_b32_e32 v8, 16, v6
.LBB19_28:
	s_or_b64 exec, exec, s[2:3]
	s_and_saveexec_b64 s[2:3], s[0:1]
	s_cbranch_execz .LBB19_30
; %bb.29:
	v_div_scale_f32 v6, s[0:1], v5, v5, v4
	v_div_scale_f32 v7, vcc, v4, v5, v4
	s_movk_i32 s0, 0x7fff
	v_rcp_f32_e32 v9, v6
	v_fma_f32 v10, -v6, v9, 1.0
	v_fmac_f32_e32 v9, v10, v9
	v_mul_f32_e32 v10, v7, v9
	v_fma_f32 v11, -v6, v10, v7
	v_fmac_f32_e32 v10, v11, v9
	v_fma_f32 v6, -v6, v10, v7
	v_div_fmas_f32 v6, v6, v9, v10
	v_div_fixup_f32 v4, v6, v5, v4
	v_bfe_u32 v5, v4, 16, 1
	v_or_b32_e32 v6, 0x400000, v4
	v_add3_u32 v5, v5, v4, s0
	v_cmp_u_f32_e32 vcc, v4, v4
	v_cndmask_b32_e32 v4, v5, v6, vcc
	v_lshrrev_b32_e32 v7, 16, v4
.LBB19_30:
	s_or_b64 exec, exec, s[2:3]
	s_mov_b32 s0, 0x5040100
	v_perm_b32 v4, v7, v8, s0
	v_perm_b32 v3, v0, v3, s0
	global_store_dwordx2 v[1:2], v[3:4], off offset:256
.LBB19_31:
	s_endpgm
	.section	.rodata,"a",@progbits
	.p2align	6, 0x0
	.amdhsa_kernel _Z34scaled_masked_softmax_warp_forwardI14__hip_bfloat16S0_fLi8EEvPT0_PKT_PKhT1_iii
		.amdhsa_group_segment_fixed_size 0
		.amdhsa_private_segment_fixed_size 0
		.amdhsa_kernarg_size 296
		.amdhsa_user_sgpr_count 6
		.amdhsa_user_sgpr_private_segment_buffer 1
		.amdhsa_user_sgpr_dispatch_ptr 0
		.amdhsa_user_sgpr_queue_ptr 0
		.amdhsa_user_sgpr_kernarg_segment_ptr 1
		.amdhsa_user_sgpr_dispatch_id 0
		.amdhsa_user_sgpr_flat_scratch_init 0
		.amdhsa_user_sgpr_private_segment_size 0
		.amdhsa_uses_dynamic_stack 0
		.amdhsa_system_sgpr_private_segment_wavefront_offset 0
		.amdhsa_system_sgpr_workgroup_id_x 1
		.amdhsa_system_sgpr_workgroup_id_y 1
		.amdhsa_system_sgpr_workgroup_id_z 1
		.amdhsa_system_sgpr_workgroup_info 0
		.amdhsa_system_vgpr_workitem_id 1
		.amdhsa_next_free_vgpr 24
		.amdhsa_next_free_sgpr 20
		.amdhsa_reserve_vcc 1
		.amdhsa_reserve_flat_scratch 0
		.amdhsa_float_round_mode_32 0
		.amdhsa_float_round_mode_16_64 0
		.amdhsa_float_denorm_mode_32 3
		.amdhsa_float_denorm_mode_16_64 3
		.amdhsa_dx10_clamp 1
		.amdhsa_ieee_mode 1
		.amdhsa_fp16_overflow 0
		.amdhsa_exception_fp_ieee_invalid_op 0
		.amdhsa_exception_fp_denorm_src 0
		.amdhsa_exception_fp_ieee_div_zero 0
		.amdhsa_exception_fp_ieee_overflow 0
		.amdhsa_exception_fp_ieee_underflow 0
		.amdhsa_exception_fp_ieee_inexact 0
		.amdhsa_exception_int_div_zero 0
	.end_amdhsa_kernel
	.section	.text._Z34scaled_masked_softmax_warp_forwardI14__hip_bfloat16S0_fLi8EEvPT0_PKT_PKhT1_iii,"axG",@progbits,_Z34scaled_masked_softmax_warp_forwardI14__hip_bfloat16S0_fLi8EEvPT0_PKT_PKhT1_iii,comdat
.Lfunc_end19:
	.size	_Z34scaled_masked_softmax_warp_forwardI14__hip_bfloat16S0_fLi8EEvPT0_PKT_PKhT1_iii, .Lfunc_end19-_Z34scaled_masked_softmax_warp_forwardI14__hip_bfloat16S0_fLi8EEvPT0_PKT_PKhT1_iii
                                        ; -- End function
	.set _Z34scaled_masked_softmax_warp_forwardI14__hip_bfloat16S0_fLi8EEvPT0_PKT_PKhT1_iii.num_vgpr, 24
	.set _Z34scaled_masked_softmax_warp_forwardI14__hip_bfloat16S0_fLi8EEvPT0_PKT_PKhT1_iii.num_agpr, 0
	.set _Z34scaled_masked_softmax_warp_forwardI14__hip_bfloat16S0_fLi8EEvPT0_PKT_PKhT1_iii.numbered_sgpr, 20
	.set _Z34scaled_masked_softmax_warp_forwardI14__hip_bfloat16S0_fLi8EEvPT0_PKT_PKhT1_iii.num_named_barrier, 0
	.set _Z34scaled_masked_softmax_warp_forwardI14__hip_bfloat16S0_fLi8EEvPT0_PKT_PKhT1_iii.private_seg_size, 0
	.set _Z34scaled_masked_softmax_warp_forwardI14__hip_bfloat16S0_fLi8EEvPT0_PKT_PKhT1_iii.uses_vcc, 1
	.set _Z34scaled_masked_softmax_warp_forwardI14__hip_bfloat16S0_fLi8EEvPT0_PKT_PKhT1_iii.uses_flat_scratch, 0
	.set _Z34scaled_masked_softmax_warp_forwardI14__hip_bfloat16S0_fLi8EEvPT0_PKT_PKhT1_iii.has_dyn_sized_stack, 0
	.set _Z34scaled_masked_softmax_warp_forwardI14__hip_bfloat16S0_fLi8EEvPT0_PKT_PKhT1_iii.has_recursion, 0
	.set _Z34scaled_masked_softmax_warp_forwardI14__hip_bfloat16S0_fLi8EEvPT0_PKT_PKhT1_iii.has_indirect_call, 0
	.section	.AMDGPU.csdata,"",@progbits
; Kernel info:
; codeLenInByte = 3096
; TotalNumSgprs: 24
; NumVgprs: 24
; ScratchSize: 0
; MemoryBound: 0
; FloatMode: 240
; IeeeMode: 1
; LDSByteSize: 0 bytes/workgroup (compile time only)
; SGPRBlocks: 2
; VGPRBlocks: 5
; NumSGPRsForWavesPerEU: 24
; NumVGPRsForWavesPerEU: 24
; Occupancy: 10
; WaveLimiterHint : 0
; COMPUTE_PGM_RSRC2:SCRATCH_EN: 0
; COMPUTE_PGM_RSRC2:USER_SGPR: 6
; COMPUTE_PGM_RSRC2:TRAP_HANDLER: 0
; COMPUTE_PGM_RSRC2:TGID_X_EN: 1
; COMPUTE_PGM_RSRC2:TGID_Y_EN: 1
; COMPUTE_PGM_RSRC2:TGID_Z_EN: 1
; COMPUTE_PGM_RSRC2:TIDIG_COMP_CNT: 1
	.section	.text._Z34scaled_masked_softmax_warp_forwardI14__hip_bfloat16S0_fLi9EEvPT0_PKT_PKhT1_iii,"axG",@progbits,_Z34scaled_masked_softmax_warp_forwardI14__hip_bfloat16S0_fLi9EEvPT0_PKT_PKhT1_iii,comdat
	.protected	_Z34scaled_masked_softmax_warp_forwardI14__hip_bfloat16S0_fLi9EEvPT0_PKT_PKhT1_iii ; -- Begin function _Z34scaled_masked_softmax_warp_forwardI14__hip_bfloat16S0_fLi9EEvPT0_PKT_PKhT1_iii
	.globl	_Z34scaled_masked_softmax_warp_forwardI14__hip_bfloat16S0_fLi9EEvPT0_PKT_PKhT1_iii
	.p2align	8
	.type	_Z34scaled_masked_softmax_warp_forwardI14__hip_bfloat16S0_fLi9EEvPT0_PKT_PKhT1_iii,@function
_Z34scaled_masked_softmax_warp_forwardI14__hip_bfloat16S0_fLi9EEvPT0_PKT_PKhT1_iii: ; @_Z34scaled_masked_softmax_warp_forwardI14__hip_bfloat16S0_fLi9EEvPT0_PKT_PKhT1_iii
; %bb.0:
	s_load_dword s2, s[4:5], 0x34
	s_load_dwordx4 s[56:59], s[4:5], 0x18
	s_load_dwordx2 s[0:1], s[4:5], 0x28
	s_mov_b32 s9, s6
	s_waitcnt lgkmcnt(0)
	s_lshr_b32 s2, s2, 16
	s_cmp_eq_u32 s59, 1
	s_cbranch_scc1 .LBB20_2
; %bb.1:
	s_mul_i32 s3, s0, s8
	s_add_i32 s9, s3, s6
.LBB20_2:
	s_mul_i32 s1, s1, s8
	s_add_i32 s1, s1, s7
	s_mul_i32 s0, s0, s1
	s_and_b32 s10, 0xffff, s2
	s_add_i32 s0, s0, s6
	s_mul_i32 s0, s0, s10
	v_add_u32_e32 v4, s0, v1
	v_lshlrev_b32_e32 v0, 2, v0
	v_mad_u64_u32 v[2:3], s[0:1], v4, s58, v[0:1]
	s_load_dwordx4 s[60:63], s[4:5], 0x0
	s_load_dwordx2 s[6:7], s[4:5], 0x10
	v_cmp_gt_i32_e32 vcc, s57, v4
	v_ashrrev_i32_e32 v3, 31, v2
	v_lshlrev_b64 v[2:3], 1, v[2:3]
                                        ; implicit-def: $vgpr11
                                        ; implicit-def: $vgpr14
                                        ; implicit-def: $vgpr13
                                        ; implicit-def: $vgpr12
                                        ; implicit-def: $vgpr16
                                        ; implicit-def: $vgpr18
                                        ; implicit-def: $vgpr17
                                        ; implicit-def: $vgpr15
                                        ; implicit-def: $vgpr20
                                        ; implicit-def: $vgpr22
                                        ; implicit-def: $vgpr21
                                        ; implicit-def: $vgpr19
                                        ; implicit-def: $vgpr23
                                        ; implicit-def: $vgpr25
                                        ; implicit-def: $vgpr24
                                        ; implicit-def: $vgpr10
	s_and_saveexec_b64 s[2:3], vcc
	s_cbranch_execz .LBB20_20
; %bb.3:
	s_mul_i32 s0, s9, s10
	v_add_u32_e32 v1, s0, v1
	v_mad_u64_u32 v[6:7], s[0:1], v1, s58, v[0:1]
	s_waitcnt lgkmcnt(0)
	v_mov_b32_e32 v5, s63
	v_add_co_u32_e64 v4, s[0:1], s62, v2
	v_addc_co_u32_e64 v5, s[0:1], v5, v3, s[0:1]
	v_ashrrev_i32_e32 v1, 31, v6
	v_mov_b32_e32 v7, s7
	v_add_co_u32_e64 v6, s[0:1], s6, v6
	v_addc_co_u32_e64 v7, s[0:1], v7, v1, s[0:1]
	v_cmp_gt_i32_e64 s[0:1], s58, v0
	v_mov_b32_e32 v11, 0xff800000
	v_mov_b32_e32 v14, 0xff800000
	;; [unrolled: 1-line block ×4, first 2 shown]
	s_and_saveexec_b64 s[4:5], s[0:1]
	s_cbranch_execz .LBB20_7
; %bb.4:
	global_load_dword v1, v[6:7], off
	global_load_dword v12, v[4:5], off offset:2
	global_load_ushort v8, v[4:5], off offset:6
	v_mov_b32_e32 v9, 1
	s_movk_i32 s6, 0xff
	v_mov_b32_e32 v10, 0xc61c4000
	v_mov_b32_e32 v11, 0xc61c4000
	s_waitcnt vmcnt(2)
	v_lshrrev_b32_e32 v13, 8, v1
	v_cmp_ne_u16_sdwa s[8:9], v1, v9 src0_sel:BYTE_0 src1_sel:DWORD
	s_and_saveexec_b64 s[0:1], s[8:9]
	s_cbranch_execz .LBB20_6
; %bb.5:
	global_load_ushort v11, v[4:5], off
	s_waitcnt vmcnt(0)
	v_lshlrev_b32_e32 v11, 16, v11
	v_mul_f32_e32 v11, s56, v11
.LBB20_6:
	s_or_b64 exec, exec, s[0:1]
	s_waitcnt vmcnt(1)
	v_lshlrev_b32_e32 v14, 16, v12
	v_and_b32_sdwa v15, v1, s6 dst_sel:DWORD dst_unused:UNUSED_PAD src0_sel:WORD_1 src1_sel:DWORD
	v_mul_f32_e32 v14, s56, v14
	v_cmp_ne_u16_sdwa s[0:1], v13, v9 src0_sel:BYTE_0 src1_sel:DWORD
	v_and_b32_e32 v12, 0xffff0000, v12
	v_cndmask_b32_e64 v14, v10, v14, s[0:1]
	v_mul_f32_e32 v12, s56, v12
	v_cmp_ne_u16_e64 s[0:1], 1, v15
	s_waitcnt vmcnt(0)
	v_lshlrev_b32_e32 v8, 16, v8
	v_cndmask_b32_e64 v13, v10, v12, s[0:1]
	v_mul_f32_e32 v8, s56, v8
	v_cmp_ne_u16_sdwa s[0:1], v1, v9 src0_sel:BYTE_3 src1_sel:DWORD
	v_cndmask_b32_e64 v12, v10, v8, s[0:1]
.LBB20_7:
	s_or_b64 exec, exec, s[4:5]
	v_add_u32_e32 v1, 0x80, v0
	v_cmp_gt_i32_e64 s[0:1], s58, v1
	v_mov_b32_e32 v16, 0xff800000
	v_mov_b32_e32 v18, 0xff800000
	;; [unrolled: 1-line block ×4, first 2 shown]
	s_and_saveexec_b64 s[4:5], s[0:1]
	s_cbranch_execz .LBB20_11
; %bb.8:
	global_load_dword v1, v[6:7], off offset:128
	global_load_dword v15, v[4:5], off offset:258
	global_load_ushort v8, v[4:5], off offset:262
	v_mov_b32_e32 v9, 1
	s_movk_i32 s6, 0xff
	v_mov_b32_e32 v10, 0xc61c4000
	v_mov_b32_e32 v16, 0xc61c4000
	s_waitcnt vmcnt(2)
	v_lshrrev_b32_e32 v17, 8, v1
	v_cmp_ne_u16_sdwa s[8:9], v1, v9 src0_sel:BYTE_0 src1_sel:DWORD
	s_and_saveexec_b64 s[0:1], s[8:9]
	s_cbranch_execz .LBB20_10
; %bb.9:
	global_load_ushort v16, v[4:5], off offset:256
	s_waitcnt vmcnt(0)
	v_lshlrev_b32_e32 v16, 16, v16
	v_mul_f32_e32 v16, s56, v16
.LBB20_10:
	s_or_b64 exec, exec, s[0:1]
	s_waitcnt vmcnt(1)
	v_lshlrev_b32_e32 v18, 16, v15
	v_and_b32_sdwa v19, v1, s6 dst_sel:DWORD dst_unused:UNUSED_PAD src0_sel:WORD_1 src1_sel:DWORD
	v_mul_f32_e32 v18, s56, v18
	v_cmp_ne_u16_sdwa s[0:1], v17, v9 src0_sel:BYTE_0 src1_sel:DWORD
	v_and_b32_e32 v15, 0xffff0000, v15
	v_cndmask_b32_e64 v18, v10, v18, s[0:1]
	v_mul_f32_e32 v15, s56, v15
	v_cmp_ne_u16_e64 s[0:1], 1, v19
	s_waitcnt vmcnt(0)
	v_lshlrev_b32_e32 v8, 16, v8
	v_cndmask_b32_e64 v17, v10, v15, s[0:1]
	v_mul_f32_e32 v8, s56, v8
	v_cmp_ne_u16_sdwa s[0:1], v1, v9 src0_sel:BYTE_3 src1_sel:DWORD
	v_cndmask_b32_e64 v15, v10, v8, s[0:1]
.LBB20_11:
	s_or_b64 exec, exec, s[4:5]
	v_add_u32_e32 v1, 0x100, v0
	v_cmp_gt_i32_e64 s[0:1], s58, v1
	v_mov_b32_e32 v20, 0xff800000
	v_mov_b32_e32 v22, 0xff800000
	v_mov_b32_e32 v21, 0xff800000
	v_mov_b32_e32 v19, 0xff800000
	s_and_saveexec_b64 s[4:5], s[0:1]
	s_cbranch_execz .LBB20_15
; %bb.12:
	global_load_dword v1, v[6:7], off offset:256
	global_load_dword v19, v[4:5], off offset:514
	global_load_ushort v8, v[4:5], off offset:518
	v_mov_b32_e32 v9, 1
	s_movk_i32 s6, 0xff
	v_mov_b32_e32 v10, 0xc61c4000
	v_mov_b32_e32 v20, 0xc61c4000
	s_waitcnt vmcnt(2)
	v_lshrrev_b32_e32 v21, 8, v1
	v_cmp_ne_u16_sdwa s[8:9], v1, v9 src0_sel:BYTE_0 src1_sel:DWORD
	s_and_saveexec_b64 s[0:1], s[8:9]
	s_cbranch_execz .LBB20_14
; %bb.13:
	global_load_ushort v20, v[4:5], off offset:512
	s_waitcnt vmcnt(0)
	v_lshlrev_b32_e32 v20, 16, v20
	v_mul_f32_e32 v20, s56, v20
.LBB20_14:
	s_or_b64 exec, exec, s[0:1]
	s_waitcnt vmcnt(1)
	v_lshlrev_b32_e32 v22, 16, v19
	v_and_b32_sdwa v23, v1, s6 dst_sel:DWORD dst_unused:UNUSED_PAD src0_sel:WORD_1 src1_sel:DWORD
	v_mul_f32_e32 v22, s56, v22
	v_cmp_ne_u16_sdwa s[0:1], v21, v9 src0_sel:BYTE_0 src1_sel:DWORD
	v_and_b32_e32 v19, 0xffff0000, v19
	v_cndmask_b32_e64 v22, v10, v22, s[0:1]
	v_mul_f32_e32 v19, s56, v19
	v_cmp_ne_u16_e64 s[0:1], 1, v23
	s_waitcnt vmcnt(0)
	v_lshlrev_b32_e32 v8, 16, v8
	v_cndmask_b32_e64 v21, v10, v19, s[0:1]
	v_mul_f32_e32 v8, s56, v8
	v_cmp_ne_u16_sdwa s[0:1], v1, v9 src0_sel:BYTE_3 src1_sel:DWORD
	v_cndmask_b32_e64 v19, v10, v8, s[0:1]
.LBB20_15:
	s_or_b64 exec, exec, s[4:5]
	v_add_u32_e32 v1, 0x180, v0
	v_cmp_gt_i32_e64 s[0:1], s58, v1
	v_mov_b32_e32 v23, 0xff800000
	v_mov_b32_e32 v25, 0xff800000
	v_mov_b32_e32 v24, 0xff800000
	v_mov_b32_e32 v10, 0xff800000
	s_and_saveexec_b64 s[4:5], s[0:1]
	s_cbranch_execz .LBB20_19
; %bb.16:
	global_load_dword v1, v[6:7], off offset:384
	global_load_dword v9, v[4:5], off offset:770
	global_load_ushort v8, v[4:5], off offset:774
	v_mov_b32_e32 v6, 1
	s_movk_i32 s6, 0xff
	v_mov_b32_e32 v7, 0xc61c4000
	v_mov_b32_e32 v23, 0xc61c4000
	s_waitcnt vmcnt(2)
	v_lshrrev_b32_e32 v10, 8, v1
	v_cmp_ne_u16_sdwa s[8:9], v1, v6 src0_sel:BYTE_0 src1_sel:DWORD
	s_and_saveexec_b64 s[0:1], s[8:9]
	s_cbranch_execz .LBB20_18
; %bb.17:
	global_load_ushort v4, v[4:5], off offset:768
	s_waitcnt vmcnt(0)
	v_lshlrev_b32_e32 v4, 16, v4
	v_mul_f32_e32 v23, s56, v4
.LBB20_18:
	s_or_b64 exec, exec, s[0:1]
	s_waitcnt vmcnt(1)
	v_lshlrev_b32_e32 v5, 16, v9
	v_mul_f32_e32 v5, s56, v5
	v_cmp_ne_u16_sdwa s[0:1], v10, v6 src0_sel:BYTE_0 src1_sel:DWORD
	v_and_b32_sdwa v4, v1, s6 dst_sel:DWORD dst_unused:UNUSED_PAD src0_sel:WORD_1 src1_sel:DWORD
	v_cndmask_b32_e64 v25, v7, v5, s[0:1]
	v_and_b32_e32 v5, 0xffff0000, v9
	v_mul_f32_e32 v5, s56, v5
	v_cmp_ne_u16_e64 s[0:1], 1, v4
	s_waitcnt vmcnt(0)
	v_lshlrev_b32_e32 v4, 16, v8
	v_cndmask_b32_e64 v24, v7, v5, s[0:1]
	v_mul_f32_e32 v4, s56, v4
	v_cmp_ne_u16_sdwa s[0:1], v1, v6 src0_sel:BYTE_3 src1_sel:DWORD
	v_cndmask_b32_e64 v10, v7, v4, s[0:1]
.LBB20_19:
	s_or_b64 exec, exec, s[4:5]
.LBB20_20:
	s_or_b64 exec, exec, s[2:3]
	v_cmp_gt_f32_e64 s[0:1], v11, v14
	v_cndmask_b32_e64 v1, v14, v11, s[0:1]
	v_cmp_gt_f32_e64 s[0:1], v1, v13
	v_cndmask_b32_e64 v1, v13, v1, s[0:1]
	;; [unrolled: 2-line block ×15, first 2 shown]
	v_mbcnt_lo_u32_b32 v1, -1, 0
	v_mbcnt_hi_u32_b32 v6, -1, v1
	v_and_b32_e32 v1, 0x60, v6
	v_add_u32_e32 v7, 32, v1
	v_xor_b32_e32 v1, 16, v6
	v_cmp_lt_i32_e64 s[0:1], v1, v7
	v_cndmask_b32_e64 v1, v6, v1, s[0:1]
	v_lshlrev_b32_e32 v1, 2, v1
	ds_bpermute_b32 v5, v1, v4
	s_mov_b32 s33, 0x3fb8aa3b
	s_mov_b32 s56, 0xc2ce8ed0
	;; [unrolled: 1-line block ×3, first 2 shown]
	s_waitcnt lgkmcnt(0)
	v_cmp_lt_f32_e64 s[0:1], v4, v5
	v_cndmask_b32_e64 v5, v4, v5, s[0:1]
	v_xor_b32_e32 v4, 8, v6
	v_cmp_lt_i32_e64 s[0:1], v4, v7
	v_cndmask_b32_e64 v4, v6, v4, s[0:1]
	v_lshlrev_b32_e32 v4, 2, v4
	ds_bpermute_b32 v8, v4, v5
	s_waitcnt lgkmcnt(0)
	v_cmp_lt_f32_e64 s[0:1], v5, v8
	v_cndmask_b32_e64 v8, v5, v8, s[0:1]
	v_xor_b32_e32 v5, 4, v6
	v_cmp_lt_i32_e64 s[0:1], v5, v7
	v_cndmask_b32_e64 v5, v6, v5, s[0:1]
	v_lshlrev_b32_e32 v5, 2, v5
	ds_bpermute_b32 v9, v5, v8
	;; [unrolled: 8-line block ×4, first 2 shown]
	s_waitcnt lgkmcnt(0)
	v_cmp_lt_f32_e64 s[0:1], v26, v6
	v_cndmask_b32_e64 v6, v26, v6, s[0:1]
	v_sub_f32_e32 v7, v11, v6
	v_mul_f32_e32 v11, 0x3fb8aa3b, v7
	v_fma_f32 v26, v7, s33, -v11
	v_rndne_f32_e32 v27, v11
	v_fmac_f32_e32 v26, 0x32a5705f, v7
	v_sub_f32_e32 v11, v11, v27
	v_add_f32_e32 v11, v11, v26
	v_exp_f32_e32 v11, v11
	v_cvt_i32_f32_e32 v26, v27
	v_sub_f32_e32 v24, v24, v6
	v_cmp_ngt_f32_e64 s[54:55], s56, v24
	v_ldexp_f32 v11, v11, v26
	v_sub_f32_e32 v26, v14, v6
	v_mul_f32_e32 v14, 0x3fb8aa3b, v26
	v_fma_f32 v27, v26, s33, -v14
	v_rndne_f32_e32 v28, v14
	v_fmac_f32_e32 v27, 0x32a5705f, v26
	v_sub_f32_e32 v14, v14, v28
	v_add_f32_e32 v14, v14, v27
	v_exp_f32_e32 v14, v14
	v_cvt_i32_f32_e32 v27, v28
	v_cmp_ngt_f32_e64 s[28:29], s56, v26
	v_cmp_nlt_f32_e64 s[0:1], s57, v26
	v_sub_f32_e32 v26, v13, v6
	v_mul_f32_e32 v13, 0x3fb8aa3b, v26
	v_ldexp_f32 v14, v14, v27
	v_fma_f32 v27, v26, s33, -v13
	v_rndne_f32_e32 v28, v13
	v_fmac_f32_e32 v27, 0x32a5705f, v26
	v_sub_f32_e32 v13, v13, v28
	v_add_f32_e32 v13, v13, v27
	v_exp_f32_e32 v13, v13
	v_cvt_i32_f32_e32 v27, v28
	v_cmp_ngt_f32_e64 s[26:27], s56, v26
	v_cmp_nlt_f32_e64 s[2:3], s57, v26
	v_sub_f32_e32 v26, v12, v6
	v_mul_f32_e32 v12, 0x3fb8aa3b, v26
	v_ldexp_f32 v13, v13, v27
	;; [unrolled: 12-line block ×12, first 2 shown]
	v_fma_f32 v27, v26, s33, -v25
	v_rndne_f32_e32 v28, v25
	v_fmac_f32_e32 v27, 0x32a5705f, v26
	v_sub_f32_e32 v25, v25, v28
	v_add_f32_e32 v25, v25, v27
	v_exp_f32_e32 v25, v25
	v_cvt_i32_f32_e32 v27, v28
	v_cmp_ngt_f32_e64 s[52:53], s56, v26
	v_cmp_nlt_f32_e64 s[24:25], s57, v26
	v_mul_f32_e32 v26, 0x3fb8aa3b, v24
	v_ldexp_f32 v25, v25, v27
	v_fma_f32 v27, v24, s33, -v26
	v_rndne_f32_e32 v28, v26
	v_fmac_f32_e32 v27, 0x32a5705f, v24
	v_sub_f32_e32 v26, v26, v28
	v_add_f32_e32 v26, v26, v27
	v_exp_f32_e32 v26, v26
	v_cvt_i32_f32_e32 v27, v28
	v_cndmask_b32_e64 v14, 0, v14, s[28:29]
	v_cmp_nlt_f32_e64 s[28:29], s57, v24
	v_cndmask_b32_e64 v12, 0, v12, s[30:31]
	v_ldexp_f32 v29, v26, v27
	v_sub_f32_e32 v26, v10, v6
	v_mul_f32_e32 v10, 0x3fb8aa3b, v26
	v_fma_f32 v27, v26, s33, -v10
	v_rndne_f32_e32 v24, v10
	v_fmac_f32_e32 v27, 0x32a5705f, v26
	v_sub_f32_e32 v10, v10, v24
	v_add_f32_e32 v10, v10, v27
	v_exp_f32_e32 v10, v10
	v_cvt_i32_f32_e32 v24, v24
	v_cmp_nlt_f32_e64 s[30:31], s57, v7
	v_cndmask_b32_e64 v27, 0, v21, s[46:47]
	v_cndmask_b32_e64 v21, 0, v29, s[54:55]
	v_ldexp_f32 v30, v10, v24
	v_cndmask_b32_e64 v10, 0, v13, s[26:27]
	v_cndmask_b32_e64 v13, 0, v16, s[34:35]
	;; [unrolled: 1-line block ×3, first 2 shown]
	v_cmp_ngt_f32_e64 s[36:37], s56, v7
	v_cmp_ngt_f32_e64 s[34:35], s56, v26
	v_cmp_nlt_f32_e64 s[26:27], s57, v26
	v_cndmask_b32_e64 v26, 0, v22, s[44:45]
	v_cndmask_b32_e64 v22, 0, v25, s[52:53]
	;; [unrolled: 1-line block ×3, first 2 shown]
	v_mov_b32_e32 v25, 0x7f800000
	v_cndmask_b32_e64 v32, v25, v11, s[30:31]
	v_cndmask_b32_e64 v31, v25, v14, s[0:1]
	;; [unrolled: 1-line block ×5, first 2 shown]
	v_add_f32_e32 v21, v32, v31
	v_cndmask_b32_e64 v29, v25, v12, s[4:5]
	v_add_f32_e32 v21, v21, v30
	v_cndmask_b32_e64 v24, 0, v20, s[42:43]
	v_cndmask_b32_e64 v20, v25, v13, s[6:7]
	v_add_f32_e32 v21, v21, v29
	v_cndmask_b32_e64 v17, 0, v17, s[38:39]
	v_cndmask_b32_e64 v28, 0, v19, s[48:49]
	;; [unrolled: 1-line block ×3, first 2 shown]
	v_add_f32_e32 v21, v21, v20
	v_cndmask_b32_e64 v15, 0, v15, s[40:41]
	v_cndmask_b32_e64 v18, v25, v17, s[10:11]
	v_add_f32_e32 v21, v21, v19
	v_cndmask_b32_e64 v17, v25, v15, s[12:13]
	v_add_f32_e32 v21, v21, v18
	;; [unrolled: 2-line block ×5, first 2 shown]
	v_cndmask_b32_e64 v23, 0, v23, s[50:51]
	v_cndmask_b32_e64 v13, v25, v28, s[20:21]
	v_add_f32_e32 v21, v21, v14
	v_cndmask_b32_e64 v12, v25, v23, s[22:23]
	v_add_f32_e32 v21, v21, v13
	;; [unrolled: 2-line block ×3, first 2 shown]
	v_add_f32_e32 v21, v21, v11
	v_cndmask_b32_e64 v7, v25, v7, s[26:27]
	v_add_f32_e32 v21, v21, v10
	v_add_f32_e32 v21, v21, v7
	ds_bpermute_b32 v1, v1, v21
	v_cmp_gt_i32_e64 s[0:1], s58, v0
	s_and_b64 s[0:1], vcc, s[0:1]
	s_waitcnt lgkmcnt(0)
	v_add_f32_e32 v1, v21, v1
	ds_bpermute_b32 v4, v4, v1
	s_waitcnt lgkmcnt(0)
	v_add_f32_e32 v1, v1, v4
	ds_bpermute_b32 v4, v5, v1
	;; [unrolled: 3-line block ×4, first 2 shown]
	s_and_saveexec_b64 s[2:3], s[0:1]
	s_cbranch_execz .LBB20_57
; %bb.21:
	s_mov_b32 s0, 0xc61c4000
	v_cmp_neq_f32_e64 s[0:1], s0, v6
	s_waitcnt lgkmcnt(0)
	v_add_f32_e32 v4, v1, v4
	v_mov_b32_e32 v5, 0
	v_mov_b32_e32 v6, 0
	s_and_saveexec_b64 s[2:3], s[0:1]
	s_cbranch_execz .LBB20_23
; %bb.22:
	v_div_scale_f32 v1, s[4:5], v4, v4, v32
	v_div_scale_f32 v6, vcc, v32, v4, v32
	s_movk_i32 s4, 0x7fff
	v_rcp_f32_e32 v8, v1
	v_fma_f32 v9, -v1, v8, 1.0
	v_fmac_f32_e32 v8, v9, v8
	v_mul_f32_e32 v9, v6, v8
	v_fma_f32 v21, -v1, v9, v6
	v_fmac_f32_e32 v9, v21, v8
	v_fma_f32 v1, -v1, v9, v6
	v_div_fmas_f32 v1, v1, v8, v9
	v_div_fixup_f32 v1, v1, v4, v32
	v_bfe_u32 v6, v1, 16, 1
	v_or_b32_e32 v8, 0x400000, v1
	v_add3_u32 v6, v6, v1, s4
	v_cmp_u_f32_e32 vcc, v1, v1
	v_cndmask_b32_e32 v1, v6, v8, vcc
	v_lshrrev_b32_e32 v6, 16, v1
.LBB20_23:
	s_or_b64 exec, exec, s[2:3]
	s_and_saveexec_b64 s[2:3], s[0:1]
	s_cbranch_execz .LBB20_25
; %bb.24:
	v_div_scale_f32 v1, s[4:5], v4, v4, v31
	v_div_scale_f32 v5, vcc, v31, v4, v31
	s_movk_i32 s4, 0x7fff
	v_rcp_f32_e32 v8, v1
	v_fma_f32 v9, -v1, v8, 1.0
	v_fmac_f32_e32 v8, v9, v8
	v_mul_f32_e32 v9, v5, v8
	v_fma_f32 v21, -v1, v9, v5
	v_fmac_f32_e32 v9, v21, v8
	v_fma_f32 v1, -v1, v9, v5
	v_div_fmas_f32 v1, v1, v8, v9
	v_div_fixup_f32 v1, v1, v4, v31
	v_bfe_u32 v5, v1, 16, 1
	v_or_b32_e32 v8, 0x400000, v1
	v_add3_u32 v5, v5, v1, s4
	v_cmp_u_f32_e32 vcc, v1, v1
	v_cndmask_b32_e32 v1, v5, v8, vcc
	v_lshrrev_b32_e32 v5, 16, v1
.LBB20_25:
	s_or_b64 exec, exec, s[2:3]
	v_mov_b32_e32 v8, 0
	v_mov_b32_e32 v9, 0
	s_and_saveexec_b64 s[2:3], s[0:1]
	s_cbranch_execz .LBB20_27
; %bb.26:
	v_div_scale_f32 v1, s[4:5], v4, v4, v30
	v_div_scale_f32 v9, vcc, v30, v4, v30
	s_movk_i32 s4, 0x7fff
	v_rcp_f32_e32 v21, v1
	v_fma_f32 v22, -v1, v21, 1.0
	v_fmac_f32_e32 v21, v22, v21
	v_mul_f32_e32 v22, v9, v21
	v_fma_f32 v23, -v1, v22, v9
	v_fmac_f32_e32 v22, v23, v21
	v_fma_f32 v1, -v1, v22, v9
	v_div_fmas_f32 v1, v1, v21, v22
	v_div_fixup_f32 v1, v1, v4, v30
	v_bfe_u32 v9, v1, 16, 1
	v_or_b32_e32 v21, 0x400000, v1
	v_add3_u32 v9, v9, v1, s4
	v_cmp_u_f32_e32 vcc, v1, v1
	v_cndmask_b32_e32 v1, v9, v21, vcc
	v_lshrrev_b32_e32 v9, 16, v1
.LBB20_27:
	s_or_b64 exec, exec, s[2:3]
	s_and_saveexec_b64 s[2:3], s[0:1]
	s_cbranch_execz .LBB20_29
; %bb.28:
	v_div_scale_f32 v1, s[4:5], v4, v4, v29
	v_div_scale_f32 v8, vcc, v29, v4, v29
	s_movk_i32 s4, 0x7fff
	v_rcp_f32_e32 v21, v1
	v_fma_f32 v22, -v1, v21, 1.0
	v_fmac_f32_e32 v21, v22, v21
	v_mul_f32_e32 v22, v8, v21
	v_fma_f32 v23, -v1, v22, v8
	v_fmac_f32_e32 v22, v23, v21
	v_fma_f32 v1, -v1, v22, v8
	v_div_fmas_f32 v1, v1, v21, v22
	v_div_fixup_f32 v1, v1, v4, v29
	v_bfe_u32 v8, v1, 16, 1
	v_or_b32_e32 v21, 0x400000, v1
	v_add3_u32 v8, v8, v1, s4
	v_cmp_u_f32_e32 vcc, v1, v1
	v_cndmask_b32_e32 v1, v8, v21, vcc
	v_lshrrev_b32_e32 v8, 16, v1
.LBB20_29:
	s_or_b64 exec, exec, s[2:3]
	v_mov_b32_e32 v21, s61
	v_add_co_u32_e32 v1, vcc, s60, v2
	v_addc_co_u32_e32 v2, vcc, v21, v3, vcc
	s_mov_b32 s2, 0x5040100
	v_add_u32_e32 v3, 0x80, v0
	v_perm_b32 v9, v8, v9, s2
	v_perm_b32 v8, v5, v6, s2
	v_cmp_gt_u32_e32 vcc, s58, v3
	global_store_dwordx2 v[1:2], v[8:9], off
	s_and_b64 exec, exec, vcc
	s_cbranch_execz .LBB20_57
; %bb.30:
	v_mov_b32_e32 v3, 0
	v_mov_b32_e32 v5, 0
	s_and_saveexec_b64 s[2:3], s[0:1]
	s_cbranch_execz .LBB20_32
; %bb.31:
	v_div_scale_f32 v5, s[4:5], v4, v4, v20
	v_div_scale_f32 v6, vcc, v20, v4, v20
	s_movk_i32 s4, 0x7fff
	v_rcp_f32_e32 v8, v5
	v_fma_f32 v9, -v5, v8, 1.0
	v_fmac_f32_e32 v8, v9, v8
	v_mul_f32_e32 v9, v6, v8
	v_fma_f32 v21, -v5, v9, v6
	v_fmac_f32_e32 v9, v21, v8
	v_fma_f32 v5, -v5, v9, v6
	v_div_fmas_f32 v5, v5, v8, v9
	v_div_fixup_f32 v5, v5, v4, v20
	v_bfe_u32 v6, v5, 16, 1
	v_or_b32_e32 v8, 0x400000, v5
	v_add3_u32 v6, v6, v5, s4
	v_cmp_u_f32_e32 vcc, v5, v5
	v_cndmask_b32_e32 v5, v6, v8, vcc
	v_lshrrev_b32_e32 v5, 16, v5
.LBB20_32:
	s_or_b64 exec, exec, s[2:3]
	s_and_saveexec_b64 s[2:3], s[0:1]
	s_cbranch_execz .LBB20_34
; %bb.33:
	v_div_scale_f32 v3, s[4:5], v4, v4, v19
	v_div_scale_f32 v6, vcc, v19, v4, v19
	s_movk_i32 s4, 0x7fff
	v_rcp_f32_e32 v8, v3
	v_fma_f32 v9, -v3, v8, 1.0
	v_fmac_f32_e32 v8, v9, v8
	v_mul_f32_e32 v9, v6, v8
	v_fma_f32 v20, -v3, v9, v6
	v_fmac_f32_e32 v9, v20, v8
	v_fma_f32 v3, -v3, v9, v6
	v_div_fmas_f32 v3, v3, v8, v9
	v_div_fixup_f32 v3, v3, v4, v19
	v_bfe_u32 v6, v3, 16, 1
	v_or_b32_e32 v8, 0x400000, v3
	v_add3_u32 v6, v6, v3, s4
	v_cmp_u_f32_e32 vcc, v3, v3
	v_cndmask_b32_e32 v3, v6, v8, vcc
	v_lshrrev_b32_e32 v3, 16, v3
.LBB20_34:
	s_or_b64 exec, exec, s[2:3]
	v_mov_b32_e32 v6, 0
	v_mov_b32_e32 v8, 0
	s_and_saveexec_b64 s[2:3], s[0:1]
	s_cbranch_execz .LBB20_36
; %bb.35:
	v_div_scale_f32 v8, s[4:5], v4, v4, v18
	v_div_scale_f32 v9, vcc, v18, v4, v18
	s_movk_i32 s4, 0x7fff
	v_rcp_f32_e32 v19, v8
	v_fma_f32 v20, -v8, v19, 1.0
	v_fmac_f32_e32 v19, v20, v19
	v_mul_f32_e32 v20, v9, v19
	v_fma_f32 v21, -v8, v20, v9
	v_fmac_f32_e32 v20, v21, v19
	v_fma_f32 v8, -v8, v20, v9
	v_div_fmas_f32 v8, v8, v19, v20
	v_div_fixup_f32 v8, v8, v4, v18
	v_bfe_u32 v9, v8, 16, 1
	v_or_b32_e32 v18, 0x400000, v8
	v_add3_u32 v9, v9, v8, s4
	v_cmp_u_f32_e32 vcc, v8, v8
	v_cndmask_b32_e32 v8, v9, v18, vcc
	v_lshrrev_b32_e32 v8, 16, v8
.LBB20_36:
	s_or_b64 exec, exec, s[2:3]
	s_and_saveexec_b64 s[2:3], s[0:1]
	s_cbranch_execz .LBB20_38
; %bb.37:
	v_div_scale_f32 v6, s[4:5], v4, v4, v17
	v_div_scale_f32 v9, vcc, v17, v4, v17
	s_movk_i32 s4, 0x7fff
	v_rcp_f32_e32 v18, v6
	v_fma_f32 v19, -v6, v18, 1.0
	v_fmac_f32_e32 v18, v19, v18
	v_mul_f32_e32 v19, v9, v18
	v_fma_f32 v20, -v6, v19, v9
	v_fmac_f32_e32 v19, v20, v18
	v_fma_f32 v6, -v6, v19, v9
	v_div_fmas_f32 v6, v6, v18, v19
	v_div_fixup_f32 v6, v6, v4, v17
	v_bfe_u32 v9, v6, 16, 1
	v_or_b32_e32 v17, 0x400000, v6
	v_add3_u32 v9, v9, v6, s4
	v_cmp_u_f32_e32 vcc, v6, v6
	v_cndmask_b32_e32 v6, v9, v17, vcc
	v_lshrrev_b32_e32 v6, 16, v6
.LBB20_38:
	s_or_b64 exec, exec, s[2:3]
	s_mov_b32 s2, 0x5040100
	v_perm_b32 v5, v3, v5, s2
	v_add_u32_e32 v3, 0x100, v0
	v_perm_b32 v6, v6, v8, s2
	v_cmp_gt_u32_e32 vcc, s58, v3
	global_store_dwordx2 v[1:2], v[5:6], off offset:256
	s_and_b64 exec, exec, vcc
	s_cbranch_execz .LBB20_57
; %bb.39:
	v_mov_b32_e32 v3, 0
	v_mov_b32_e32 v5, 0
	s_and_saveexec_b64 s[2:3], s[0:1]
	s_cbranch_execz .LBB20_41
; %bb.40:
	v_div_scale_f32 v5, s[4:5], v4, v4, v16
	v_div_scale_f32 v6, vcc, v16, v4, v16
	s_movk_i32 s4, 0x7fff
	v_rcp_f32_e32 v8, v5
	v_fma_f32 v9, -v5, v8, 1.0
	v_fmac_f32_e32 v8, v9, v8
	v_mul_f32_e32 v9, v6, v8
	v_fma_f32 v17, -v5, v9, v6
	v_fmac_f32_e32 v9, v17, v8
	v_fma_f32 v5, -v5, v9, v6
	v_div_fmas_f32 v5, v5, v8, v9
	v_div_fixup_f32 v5, v5, v4, v16
	v_bfe_u32 v6, v5, 16, 1
	v_or_b32_e32 v8, 0x400000, v5
	v_add3_u32 v6, v6, v5, s4
	v_cmp_u_f32_e32 vcc, v5, v5
	v_cndmask_b32_e32 v5, v6, v8, vcc
	v_lshrrev_b32_e32 v5, 16, v5
.LBB20_41:
	s_or_b64 exec, exec, s[2:3]
	s_and_saveexec_b64 s[2:3], s[0:1]
	s_cbranch_execz .LBB20_43
; %bb.42:
	v_div_scale_f32 v3, s[4:5], v4, v4, v15
	v_div_scale_f32 v6, vcc, v15, v4, v15
	s_movk_i32 s4, 0x7fff
	v_rcp_f32_e32 v8, v3
	v_fma_f32 v9, -v3, v8, 1.0
	v_fmac_f32_e32 v8, v9, v8
	v_mul_f32_e32 v9, v6, v8
	v_fma_f32 v16, -v3, v9, v6
	v_fmac_f32_e32 v9, v16, v8
	v_fma_f32 v3, -v3, v9, v6
	v_div_fmas_f32 v3, v3, v8, v9
	v_div_fixup_f32 v3, v3, v4, v15
	v_bfe_u32 v6, v3, 16, 1
	v_or_b32_e32 v8, 0x400000, v3
	v_add3_u32 v6, v6, v3, s4
	v_cmp_u_f32_e32 vcc, v3, v3
	v_cndmask_b32_e32 v3, v6, v8, vcc
	v_lshrrev_b32_e32 v3, 16, v3
.LBB20_43:
	s_or_b64 exec, exec, s[2:3]
	v_mov_b32_e32 v6, 0
	v_mov_b32_e32 v8, 0
	s_and_saveexec_b64 s[2:3], s[0:1]
	s_cbranch_execz .LBB20_45
; %bb.44:
	v_div_scale_f32 v8, s[4:5], v4, v4, v14
	v_div_scale_f32 v9, vcc, v14, v4, v14
	s_movk_i32 s4, 0x7fff
	v_rcp_f32_e32 v15, v8
	v_fma_f32 v16, -v8, v15, 1.0
	v_fmac_f32_e32 v15, v16, v15
	v_mul_f32_e32 v16, v9, v15
	v_fma_f32 v17, -v8, v16, v9
	v_fmac_f32_e32 v16, v17, v15
	v_fma_f32 v8, -v8, v16, v9
	v_div_fmas_f32 v8, v8, v15, v16
	v_div_fixup_f32 v8, v8, v4, v14
	v_bfe_u32 v9, v8, 16, 1
	v_or_b32_e32 v14, 0x400000, v8
	v_add3_u32 v9, v9, v8, s4
	v_cmp_u_f32_e32 vcc, v8, v8
	v_cndmask_b32_e32 v8, v9, v14, vcc
	v_lshrrev_b32_e32 v8, 16, v8
.LBB20_45:
	s_or_b64 exec, exec, s[2:3]
	s_and_saveexec_b64 s[2:3], s[0:1]
	s_cbranch_execz .LBB20_47
; %bb.46:
	v_div_scale_f32 v6, s[4:5], v4, v4, v13
	v_div_scale_f32 v9, vcc, v13, v4, v13
	s_movk_i32 s4, 0x7fff
	v_rcp_f32_e32 v14, v6
	v_fma_f32 v15, -v6, v14, 1.0
	v_fmac_f32_e32 v14, v15, v14
	v_mul_f32_e32 v15, v9, v14
	v_fma_f32 v16, -v6, v15, v9
	v_fmac_f32_e32 v15, v16, v14
	v_fma_f32 v6, -v6, v15, v9
	v_div_fmas_f32 v6, v6, v14, v15
	v_div_fixup_f32 v6, v6, v4, v13
	v_bfe_u32 v9, v6, 16, 1
	v_or_b32_e32 v13, 0x400000, v6
	v_add3_u32 v9, v9, v6, s4
	v_cmp_u_f32_e32 vcc, v6, v6
	v_cndmask_b32_e32 v6, v9, v13, vcc
	v_lshrrev_b32_e32 v6, 16, v6
.LBB20_47:
	s_or_b64 exec, exec, s[2:3]
	s_mov_b32 s2, 0x5040100
	v_add_u32_e32 v0, 0x180, v0
	v_perm_b32 v6, v6, v8, s2
	v_perm_b32 v5, v3, v5, s2
	v_cmp_gt_u32_e32 vcc, s58, v0
	global_store_dwordx2 v[1:2], v[5:6], off offset:512
	s_and_b64 exec, exec, vcc
	s_cbranch_execz .LBB20_57
; %bb.48:
	v_mov_b32_e32 v0, 0
	v_mov_b32_e32 v3, 0
	s_and_saveexec_b64 s[2:3], s[0:1]
	s_cbranch_execz .LBB20_50
; %bb.49:
	v_div_scale_f32 v3, s[4:5], v4, v4, v12
	v_div_scale_f32 v5, vcc, v12, v4, v12
	s_movk_i32 s4, 0x7fff
	v_rcp_f32_e32 v6, v3
	v_fma_f32 v8, -v3, v6, 1.0
	v_fmac_f32_e32 v6, v8, v6
	v_mul_f32_e32 v8, v5, v6
	v_fma_f32 v9, -v3, v8, v5
	v_fmac_f32_e32 v8, v9, v6
	v_fma_f32 v3, -v3, v8, v5
	v_div_fmas_f32 v3, v3, v6, v8
	v_div_fixup_f32 v3, v3, v4, v12
	v_bfe_u32 v5, v3, 16, 1
	v_or_b32_e32 v6, 0x400000, v3
	v_add3_u32 v5, v5, v3, s4
	v_cmp_u_f32_e32 vcc, v3, v3
	v_cndmask_b32_e32 v3, v5, v6, vcc
	v_lshrrev_b32_e32 v3, 16, v3
.LBB20_50:
	s_or_b64 exec, exec, s[2:3]
	s_and_saveexec_b64 s[2:3], s[0:1]
	s_cbranch_execz .LBB20_52
; %bb.51:
	v_div_scale_f32 v0, s[4:5], v4, v4, v11
	v_div_scale_f32 v5, vcc, v11, v4, v11
	s_movk_i32 s4, 0x7fff
	v_rcp_f32_e32 v6, v0
	v_fma_f32 v8, -v0, v6, 1.0
	v_fmac_f32_e32 v6, v8, v6
	v_mul_f32_e32 v8, v5, v6
	v_fma_f32 v9, -v0, v8, v5
	v_fmac_f32_e32 v8, v9, v6
	v_fma_f32 v0, -v0, v8, v5
	v_div_fmas_f32 v0, v0, v6, v8
	v_div_fixup_f32 v0, v0, v4, v11
	v_bfe_u32 v5, v0, 16, 1
	v_or_b32_e32 v6, 0x400000, v0
	v_add3_u32 v5, v5, v0, s4
	v_cmp_u_f32_e32 vcc, v0, v0
	v_cndmask_b32_e32 v0, v5, v6, vcc
	v_lshrrev_b32_e32 v0, 16, v0
.LBB20_52:
	s_or_b64 exec, exec, s[2:3]
	v_mov_b32_e32 v5, 0
	v_mov_b32_e32 v6, 0
	s_and_saveexec_b64 s[2:3], s[0:1]
	s_cbranch_execz .LBB20_54
; %bb.53:
	v_div_scale_f32 v6, s[4:5], v4, v4, v10
	v_div_scale_f32 v8, vcc, v10, v4, v10
	s_movk_i32 s4, 0x7fff
	v_rcp_f32_e32 v9, v6
	v_fma_f32 v11, -v6, v9, 1.0
	v_fmac_f32_e32 v9, v11, v9
	v_mul_f32_e32 v11, v8, v9
	v_fma_f32 v12, -v6, v11, v8
	v_fmac_f32_e32 v11, v12, v9
	v_fma_f32 v6, -v6, v11, v8
	v_div_fmas_f32 v6, v6, v9, v11
	v_div_fixup_f32 v6, v6, v4, v10
	v_bfe_u32 v8, v6, 16, 1
	v_or_b32_e32 v9, 0x400000, v6
	v_add3_u32 v8, v8, v6, s4
	v_cmp_u_f32_e32 vcc, v6, v6
	v_cndmask_b32_e32 v6, v8, v9, vcc
	v_lshrrev_b32_e32 v6, 16, v6
.LBB20_54:
	s_or_b64 exec, exec, s[2:3]
	s_and_saveexec_b64 s[2:3], s[0:1]
	s_cbranch_execz .LBB20_56
; %bb.55:
	v_div_scale_f32 v5, s[0:1], v4, v4, v7
	v_div_scale_f32 v8, vcc, v7, v4, v7
	s_movk_i32 s0, 0x7fff
	v_rcp_f32_e32 v9, v5
	v_fma_f32 v10, -v5, v9, 1.0
	v_fmac_f32_e32 v9, v10, v9
	v_mul_f32_e32 v10, v8, v9
	v_fma_f32 v11, -v5, v10, v8
	v_fmac_f32_e32 v10, v11, v9
	v_fma_f32 v5, -v5, v10, v8
	v_div_fmas_f32 v5, v5, v9, v10
	v_div_fixup_f32 v4, v5, v4, v7
	v_bfe_u32 v5, v4, 16, 1
	v_or_b32_e32 v7, 0x400000, v4
	v_add3_u32 v5, v5, v4, s0
	v_cmp_u_f32_e32 vcc, v4, v4
	v_cndmask_b32_e32 v4, v5, v7, vcc
	v_lshrrev_b32_e32 v5, 16, v4
.LBB20_56:
	s_or_b64 exec, exec, s[2:3]
	s_mov_b32 s0, 0x5040100
	v_perm_b32 v4, v5, v6, s0
	v_perm_b32 v3, v0, v3, s0
	global_store_dwordx2 v[1:2], v[3:4], off offset:768
.LBB20_57:
	s_endpgm
	.section	.rodata,"a",@progbits
	.p2align	6, 0x0
	.amdhsa_kernel _Z34scaled_masked_softmax_warp_forwardI14__hip_bfloat16S0_fLi9EEvPT0_PKT_PKhT1_iii
		.amdhsa_group_segment_fixed_size 0
		.amdhsa_private_segment_fixed_size 0
		.amdhsa_kernarg_size 296
		.amdhsa_user_sgpr_count 6
		.amdhsa_user_sgpr_private_segment_buffer 1
		.amdhsa_user_sgpr_dispatch_ptr 0
		.amdhsa_user_sgpr_queue_ptr 0
		.amdhsa_user_sgpr_kernarg_segment_ptr 1
		.amdhsa_user_sgpr_dispatch_id 0
		.amdhsa_user_sgpr_flat_scratch_init 0
		.amdhsa_user_sgpr_private_segment_size 0
		.amdhsa_uses_dynamic_stack 0
		.amdhsa_system_sgpr_private_segment_wavefront_offset 0
		.amdhsa_system_sgpr_workgroup_id_x 1
		.amdhsa_system_sgpr_workgroup_id_y 1
		.amdhsa_system_sgpr_workgroup_id_z 1
		.amdhsa_system_sgpr_workgroup_info 0
		.amdhsa_system_vgpr_workitem_id 1
		.amdhsa_next_free_vgpr 33
		.amdhsa_next_free_sgpr 64
		.amdhsa_reserve_vcc 1
		.amdhsa_reserve_flat_scratch 0
		.amdhsa_float_round_mode_32 0
		.amdhsa_float_round_mode_16_64 0
		.amdhsa_float_denorm_mode_32 3
		.amdhsa_float_denorm_mode_16_64 3
		.amdhsa_dx10_clamp 1
		.amdhsa_ieee_mode 1
		.amdhsa_fp16_overflow 0
		.amdhsa_exception_fp_ieee_invalid_op 0
		.amdhsa_exception_fp_denorm_src 0
		.amdhsa_exception_fp_ieee_div_zero 0
		.amdhsa_exception_fp_ieee_overflow 0
		.amdhsa_exception_fp_ieee_underflow 0
		.amdhsa_exception_fp_ieee_inexact 0
		.amdhsa_exception_int_div_zero 0
	.end_amdhsa_kernel
	.section	.text._Z34scaled_masked_softmax_warp_forwardI14__hip_bfloat16S0_fLi9EEvPT0_PKT_PKhT1_iii,"axG",@progbits,_Z34scaled_masked_softmax_warp_forwardI14__hip_bfloat16S0_fLi9EEvPT0_PKT_PKhT1_iii,comdat
.Lfunc_end20:
	.size	_Z34scaled_masked_softmax_warp_forwardI14__hip_bfloat16S0_fLi9EEvPT0_PKT_PKhT1_iii, .Lfunc_end20-_Z34scaled_masked_softmax_warp_forwardI14__hip_bfloat16S0_fLi9EEvPT0_PKT_PKhT1_iii
                                        ; -- End function
	.set _Z34scaled_masked_softmax_warp_forwardI14__hip_bfloat16S0_fLi9EEvPT0_PKT_PKhT1_iii.num_vgpr, 33
	.set _Z34scaled_masked_softmax_warp_forwardI14__hip_bfloat16S0_fLi9EEvPT0_PKT_PKhT1_iii.num_agpr, 0
	.set _Z34scaled_masked_softmax_warp_forwardI14__hip_bfloat16S0_fLi9EEvPT0_PKT_PKhT1_iii.numbered_sgpr, 64
	.set _Z34scaled_masked_softmax_warp_forwardI14__hip_bfloat16S0_fLi9EEvPT0_PKT_PKhT1_iii.num_named_barrier, 0
	.set _Z34scaled_masked_softmax_warp_forwardI14__hip_bfloat16S0_fLi9EEvPT0_PKT_PKhT1_iii.private_seg_size, 0
	.set _Z34scaled_masked_softmax_warp_forwardI14__hip_bfloat16S0_fLi9EEvPT0_PKT_PKhT1_iii.uses_vcc, 1
	.set _Z34scaled_masked_softmax_warp_forwardI14__hip_bfloat16S0_fLi9EEvPT0_PKT_PKhT1_iii.uses_flat_scratch, 0
	.set _Z34scaled_masked_softmax_warp_forwardI14__hip_bfloat16S0_fLi9EEvPT0_PKT_PKhT1_iii.has_dyn_sized_stack, 0
	.set _Z34scaled_masked_softmax_warp_forwardI14__hip_bfloat16S0_fLi9EEvPT0_PKT_PKhT1_iii.has_recursion, 0
	.set _Z34scaled_masked_softmax_warp_forwardI14__hip_bfloat16S0_fLi9EEvPT0_PKT_PKhT1_iii.has_indirect_call, 0
	.section	.AMDGPU.csdata,"",@progbits
; Kernel info:
; codeLenInByte = 5584
; TotalNumSgprs: 68
; NumVgprs: 33
; ScratchSize: 0
; MemoryBound: 0
; FloatMode: 240
; IeeeMode: 1
; LDSByteSize: 0 bytes/workgroup (compile time only)
; SGPRBlocks: 8
; VGPRBlocks: 8
; NumSGPRsForWavesPerEU: 68
; NumVGPRsForWavesPerEU: 33
; Occupancy: 7
; WaveLimiterHint : 0
; COMPUTE_PGM_RSRC2:SCRATCH_EN: 0
; COMPUTE_PGM_RSRC2:USER_SGPR: 6
; COMPUTE_PGM_RSRC2:TRAP_HANDLER: 0
; COMPUTE_PGM_RSRC2:TGID_X_EN: 1
; COMPUTE_PGM_RSRC2:TGID_Y_EN: 1
; COMPUTE_PGM_RSRC2:TGID_Z_EN: 1
; COMPUTE_PGM_RSRC2:TIDIG_COMP_CNT: 1
	.section	.text._Z34scaled_masked_softmax_warp_forwardI14__hip_bfloat16S0_fLi10EEvPT0_PKT_PKhT1_iii,"axG",@progbits,_Z34scaled_masked_softmax_warp_forwardI14__hip_bfloat16S0_fLi10EEvPT0_PKT_PKhT1_iii,comdat
	.protected	_Z34scaled_masked_softmax_warp_forwardI14__hip_bfloat16S0_fLi10EEvPT0_PKT_PKhT1_iii ; -- Begin function _Z34scaled_masked_softmax_warp_forwardI14__hip_bfloat16S0_fLi10EEvPT0_PKT_PKhT1_iii
	.globl	_Z34scaled_masked_softmax_warp_forwardI14__hip_bfloat16S0_fLi10EEvPT0_PKT_PKhT1_iii
	.p2align	8
	.type	_Z34scaled_masked_softmax_warp_forwardI14__hip_bfloat16S0_fLi10EEvPT0_PKT_PKhT1_iii,@function
_Z34scaled_masked_softmax_warp_forwardI14__hip_bfloat16S0_fLi10EEvPT0_PKT_PKhT1_iii: ; @_Z34scaled_masked_softmax_warp_forwardI14__hip_bfloat16S0_fLi10EEvPT0_PKT_PKhT1_iii
; %bb.0:
	s_load_dword s2, s[4:5], 0x34
	s_load_dwordx4 s[12:15], s[4:5], 0x18
	s_load_dwordx2 s[0:1], s[4:5], 0x28
	s_mov_b32 s9, s6
	s_waitcnt lgkmcnt(0)
	s_lshr_b32 s2, s2, 16
	s_cmp_eq_u32 s15, 1
	s_cbranch_scc1 .LBB21_2
; %bb.1:
	s_mul_i32 s3, s0, s8
	s_add_i32 s9, s3, s6
.LBB21_2:
	s_mul_i32 s1, s1, s8
	s_add_i32 s1, s1, s7
	s_mul_i32 s0, s0, s1
	s_and_b32 s10, 0xffff, s2
	s_add_i32 s0, s0, s6
	s_mul_i32 s0, s0, s10
	v_add_u32_e32 v4, s0, v1
	v_lshlrev_b32_e32 v0, 2, v0
	v_mad_u64_u32 v[2:3], s[0:1], v4, s14, v[0:1]
	s_load_dwordx4 s[16:19], s[4:5], 0x0
	s_load_dwordx2 s[6:7], s[4:5], 0x10
	v_cmp_gt_i32_e64 s[0:1], s13, v4
	v_ashrrev_i32_e32 v3, 31, v2
	v_lshlrev_b64 v[2:3], 1, v[2:3]
                                        ; implicit-def: $vgpr17
                                        ; implicit-def: $vgpr21
                                        ; implicit-def: $vgpr20
                                        ; implicit-def: $vgpr19
                                        ; implicit-def: $vgpr23
                                        ; implicit-def: $vgpr25
                                        ; implicit-def: $vgpr24
                                        ; implicit-def: $vgpr22
                                        ; implicit-def: $vgpr27
                                        ; implicit-def: $vgpr29
                                        ; implicit-def: $vgpr28
                                        ; implicit-def: $vgpr26
                                        ; implicit-def: $vgpr31
                                        ; implicit-def: $vgpr33
                                        ; implicit-def: $vgpr32
                                        ; implicit-def: $vgpr30
                                        ; implicit-def: $vgpr35
                                        ; implicit-def: $vgpr37
                                        ; implicit-def: $vgpr36
                                        ; implicit-def: $vgpr34
                                        ; implicit-def: $vgpr38
                                        ; implicit-def: $vgpr41
                                        ; implicit-def: $vgpr40
                                        ; implicit-def: $vgpr39
                                        ; implicit-def: $vgpr11
                                        ; implicit-def: $vgpr12
                                        ; implicit-def: $vgpr10
                                        ; implicit-def: $vgpr9
                                        ; implicit-def: $vgpr15
                                        ; implicit-def: $vgpr16
                                        ; implicit-def: $vgpr14
                                        ; implicit-def: $vgpr13
	s_mov_b64 s[2:3], exec
                                        ; implicit-def: $vgpr56 : SGPR spill to VGPR lane
	v_writelane_b32 v56, s0, 0
	v_writelane_b32 v56, s1, 1
	s_and_b64 s[0:1], s[2:3], s[0:1]
	s_mov_b64 exec, s[0:1]
	s_cbranch_execz .LBB21_36
; %bb.3:
	s_mul_i32 s0, s9, s10
	v_add_u32_e32 v1, s0, v1
	v_mad_u64_u32 v[6:7], s[0:1], v1, s14, v[0:1]
	s_waitcnt lgkmcnt(0)
	v_mov_b32_e32 v5, s19
	v_add_co_u32_e64 v4, s[0:1], s18, v2
	v_addc_co_u32_e64 v5, s[0:1], v5, v3, s[0:1]
	v_ashrrev_i32_e32 v1, 31, v6
	v_mov_b32_e32 v7, s7
	v_add_co_u32_e64 v6, s[0:1], s6, v6
	v_addc_co_u32_e64 v7, s[0:1], v7, v1, s[0:1]
	v_cmp_gt_i32_e64 s[0:1], s14, v0
	v_mov_b32_e32 v17, 0xff800000
	v_mov_b32_e32 v21, 0xff800000
	;; [unrolled: 1-line block ×4, first 2 shown]
	s_and_saveexec_b64 s[4:5], s[0:1]
	s_cbranch_execz .LBB21_7
; %bb.4:
	global_load_dword v1, v[6:7], off
	global_load_dword v10, v[4:5], off offset:2
	global_load_ushort v9, v[4:5], off offset:6
	v_mov_b32_e32 v11, 1
	v_mov_b32_e32 v8, 0xc61c4000
	;; [unrolled: 1-line block ×3, first 2 shown]
	s_waitcnt vmcnt(2)
	v_cmp_ne_u32_sdwa s[6:7], v1, v11 src0_sel:BYTE_0 src1_sel:DWORD
	s_and_saveexec_b64 s[0:1], s[6:7]
	s_cbranch_execz .LBB21_6
; %bb.5:
	global_load_ushort v11, v[4:5], off
	s_waitcnt vmcnt(0)
	v_lshlrev_b32_e32 v11, 16, v11
	v_mul_f32_e32 v17, s12, v11
.LBB21_6:
	s_or_b64 exec, exec, s[0:1]
	v_and_b32_e32 v11, 0xff00, v1
	s_waitcnt vmcnt(1)
	v_lshlrev_b32_e32 v12, 16, v10
	s_movk_i32 s0, 0x100
	v_mul_f32_e32 v12, s12, v12
	v_cmp_ne_u32_e32 vcc, s0, v11
	v_and_b32_e32 v11, 0xff0000, v1
	v_and_b32_e32 v10, 0xffff0000, v10
	s_mov_b32 s0, 0x10000
	v_cndmask_b32_e32 v21, v8, v12, vcc
	v_mul_f32_e32 v10, s12, v10
	v_cmp_ne_u32_e32 vcc, s0, v11
	v_and_b32_e32 v1, 0xff000000, v1
	s_waitcnt vmcnt(0)
	v_lshlrev_b32_e32 v9, 16, v9
	s_mov_b32 s0, 0x1000000
	v_cndmask_b32_e32 v20, v8, v10, vcc
	v_mul_f32_e32 v9, s12, v9
	v_cmp_ne_u32_e32 vcc, s0, v1
	v_cndmask_b32_e32 v19, v8, v9, vcc
.LBB21_7:
	s_or_b64 exec, exec, s[4:5]
	v_add_u32_e32 v1, 0x80, v0
	v_cmp_gt_i32_e32 vcc, s14, v1
	v_mov_b32_e32 v23, 0xff800000
	v_mov_b32_e32 v25, 0xff800000
	v_mov_b32_e32 v24, 0xff800000
	v_mov_b32_e32 v22, 0xff800000
	s_and_saveexec_b64 s[0:1], vcc
	s_cbranch_execz .LBB21_11
; %bb.8:
	global_load_dword v1, v[6:7], off offset:128
	global_load_dword v10, v[4:5], off offset:258
	global_load_ushort v9, v[4:5], off offset:262
	v_mov_b32_e32 v11, 1
	v_mov_b32_e32 v8, 0xc61c4000
	v_mov_b32_e32 v23, 0xc61c4000
	s_waitcnt vmcnt(2)
	v_cmp_ne_u32_sdwa s[6:7], v1, v11 src0_sel:BYTE_0 src1_sel:DWORD
	s_and_saveexec_b64 s[4:5], s[6:7]
	s_cbranch_execz .LBB21_10
; %bb.9:
	global_load_ushort v11, v[4:5], off offset:256
	s_waitcnt vmcnt(0)
	v_lshlrev_b32_e32 v11, 16, v11
	v_mul_f32_e32 v23, s12, v11
.LBB21_10:
	s_or_b64 exec, exec, s[4:5]
	v_and_b32_e32 v11, 0xff00, v1
	s_waitcnt vmcnt(1)
	v_lshlrev_b32_e32 v12, 16, v10
	s_movk_i32 s4, 0x100
	v_mul_f32_e32 v12, s12, v12
	v_cmp_ne_u32_e32 vcc, s4, v11
	v_and_b32_e32 v11, 0xff0000, v1
	v_and_b32_e32 v10, 0xffff0000, v10
	s_mov_b32 s4, 0x10000
	v_cndmask_b32_e32 v25, v8, v12, vcc
	v_mul_f32_e32 v10, s12, v10
	v_cmp_ne_u32_e32 vcc, s4, v11
	v_and_b32_e32 v1, 0xff000000, v1
	s_waitcnt vmcnt(0)
	v_lshlrev_b32_e32 v9, 16, v9
	s_mov_b32 s4, 0x1000000
	v_cndmask_b32_e32 v24, v8, v10, vcc
	v_mul_f32_e32 v9, s12, v9
	v_cmp_ne_u32_e32 vcc, s4, v1
	v_cndmask_b32_e32 v22, v8, v9, vcc
.LBB21_11:
	s_or_b64 exec, exec, s[0:1]
	v_add_u32_e32 v1, 0x100, v0
	v_cmp_gt_i32_e32 vcc, s14, v1
	v_mov_b32_e32 v27, 0xff800000
	v_mov_b32_e32 v29, 0xff800000
	v_mov_b32_e32 v28, 0xff800000
	v_mov_b32_e32 v26, 0xff800000
	s_and_saveexec_b64 s[0:1], vcc
	s_cbranch_execz .LBB21_15
; %bb.12:
	global_load_dword v1, v[6:7], off offset:256
	global_load_dword v10, v[4:5], off offset:514
	global_load_ushort v9, v[4:5], off offset:518
	v_mov_b32_e32 v11, 1
	v_mov_b32_e32 v8, 0xc61c4000
	v_mov_b32_e32 v27, 0xc61c4000
	s_waitcnt vmcnt(2)
	v_cmp_ne_u32_sdwa s[6:7], v1, v11 src0_sel:BYTE_0 src1_sel:DWORD
	s_and_saveexec_b64 s[4:5], s[6:7]
	s_cbranch_execz .LBB21_14
; %bb.13:
	global_load_ushort v11, v[4:5], off offset:512
	s_waitcnt vmcnt(0)
	v_lshlrev_b32_e32 v11, 16, v11
	v_mul_f32_e32 v27, s12, v11
.LBB21_14:
	s_or_b64 exec, exec, s[4:5]
	v_and_b32_e32 v11, 0xff00, v1
	s_waitcnt vmcnt(1)
	v_lshlrev_b32_e32 v12, 16, v10
	s_movk_i32 s4, 0x100
	v_mul_f32_e32 v12, s12, v12
	v_cmp_ne_u32_e32 vcc, s4, v11
	v_and_b32_e32 v11, 0xff0000, v1
	v_and_b32_e32 v10, 0xffff0000, v10
	s_mov_b32 s4, 0x10000
	v_cndmask_b32_e32 v29, v8, v12, vcc
	v_mul_f32_e32 v10, s12, v10
	v_cmp_ne_u32_e32 vcc, s4, v11
	v_and_b32_e32 v1, 0xff000000, v1
	s_waitcnt vmcnt(0)
	v_lshlrev_b32_e32 v9, 16, v9
	s_mov_b32 s4, 0x1000000
	v_cndmask_b32_e32 v28, v8, v10, vcc
	v_mul_f32_e32 v9, s12, v9
	v_cmp_ne_u32_e32 vcc, s4, v1
	v_cndmask_b32_e32 v26, v8, v9, vcc
.LBB21_15:
	;; [unrolled: 48-line block ×5, first 2 shown]
	s_or_b64 exec, exec, s[0:1]
	v_add_u32_e32 v1, 0x300, v0
	v_cmp_gt_i32_e32 vcc, s14, v1
	v_mov_b32_e32 v11, 0xff800000
	v_mov_b32_e32 v12, 0xff800000
	;; [unrolled: 1-line block ×4, first 2 shown]
	s_and_saveexec_b64 s[0:1], vcc
	s_cbranch_execz .LBB21_31
; %bb.28:
	global_load_dword v1, v[6:7], off offset:768
	global_load_dword v10, v[4:5], off offset:1538
	global_load_ushort v9, v[4:5], off offset:1542
	v_mov_b32_e32 v11, 1
	v_mov_b32_e32 v8, 0xc61c4000
	s_waitcnt vmcnt(2)
	v_cmp_ne_u32_sdwa s[6:7], v1, v11 src0_sel:BYTE_0 src1_sel:DWORD
	v_mov_b32_e32 v11, 0xc61c4000
	s_and_saveexec_b64 s[4:5], s[6:7]
	s_cbranch_execz .LBB21_30
; %bb.29:
	global_load_ushort v11, v[4:5], off offset:1536
	s_waitcnt vmcnt(0)
	v_lshlrev_b32_e32 v11, 16, v11
	v_mul_f32_e32 v11, s12, v11
.LBB21_30:
	s_or_b64 exec, exec, s[4:5]
	v_and_b32_e32 v12, 0xff00, v1
	s_waitcnt vmcnt(1)
	v_lshlrev_b32_e32 v13, 16, v10
	s_movk_i32 s4, 0x100
	v_mul_f32_e32 v13, s12, v13
	v_cmp_ne_u32_e32 vcc, s4, v12
	v_cndmask_b32_e32 v12, v8, v13, vcc
	v_and_b32_e32 v13, 0xff0000, v1
	v_and_b32_e32 v10, 0xffff0000, v10
	s_mov_b32 s4, 0x10000
	v_mul_f32_e32 v10, s12, v10
	v_cmp_ne_u32_e32 vcc, s4, v13
	v_and_b32_e32 v1, 0xff000000, v1
	s_waitcnt vmcnt(0)
	v_lshlrev_b32_e32 v9, 16, v9
	s_mov_b32 s4, 0x1000000
	v_cndmask_b32_e32 v10, v8, v10, vcc
	v_mul_f32_e32 v9, s12, v9
	v_cmp_ne_u32_e32 vcc, s4, v1
	v_cndmask_b32_e32 v9, v8, v9, vcc
.LBB21_31:
	s_or_b64 exec, exec, s[0:1]
	v_add_u32_e32 v1, 0x380, v0
	v_cmp_gt_i32_e32 vcc, s14, v1
	v_mov_b32_e32 v15, 0xff800000
	v_mov_b32_e32 v16, 0xff800000
	;; [unrolled: 1-line block ×4, first 2 shown]
	s_and_saveexec_b64 s[0:1], vcc
	s_cbranch_execz .LBB21_35
; %bb.32:
	global_load_dword v1, v[6:7], off offset:896
	global_load_dword v8, v[4:5], off offset:1794
	s_nop 0
	global_load_ushort v7, v[4:5], off offset:1798
	v_mov_b32_e32 v13, 1
	v_mov_b32_e32 v6, 0xc61c4000
	v_mov_b32_e32 v15, 0xc61c4000
	s_waitcnt vmcnt(2)
	v_cmp_ne_u32_sdwa s[6:7], v1, v13 src0_sel:BYTE_0 src1_sel:DWORD
	s_and_saveexec_b64 s[4:5], s[6:7]
	s_cbranch_execz .LBB21_34
; %bb.33:
	global_load_ushort v4, v[4:5], off offset:1792
	s_waitcnt vmcnt(0)
	v_lshlrev_b32_e32 v4, 16, v4
	v_mul_f32_e32 v15, s12, v4
.LBB21_34:
	s_or_b64 exec, exec, s[4:5]
	v_and_b32_e32 v4, 0xff00, v1
	s_waitcnt vmcnt(1)
	v_lshlrev_b32_e32 v5, 16, v8
	s_movk_i32 s4, 0x100
	v_mul_f32_e32 v5, s12, v5
	v_cmp_ne_u32_e32 vcc, s4, v4
	v_cndmask_b32_e32 v16, v6, v5, vcc
	v_and_b32_e32 v4, 0xff0000, v1
	v_and_b32_e32 v5, 0xffff0000, v8
	s_mov_b32 s4, 0x10000
	v_mul_f32_e32 v5, s12, v5
	v_cmp_ne_u32_e32 vcc, s4, v4
	v_and_b32_e32 v1, 0xff000000, v1
	s_waitcnt vmcnt(0)
	v_lshlrev_b32_e32 v4, 16, v7
	s_mov_b32 s4, 0x1000000
	v_cndmask_b32_e32 v14, v6, v5, vcc
	v_mul_f32_e32 v4, s12, v4
	v_cmp_ne_u32_e32 vcc, s4, v1
	v_cndmask_b32_e32 v13, v6, v4, vcc
.LBB21_35:
	s_or_b64 exec, exec, s[0:1]
.LBB21_36:
	s_waitcnt lgkmcnt(0)
	v_writelane_b32 v56, s16, 6
	v_writelane_b32 v56, s17, 7
	;; [unrolled: 1-line block ×4, first 2 shown]
	s_or_b64 exec, exec, s[2:3]
	v_cmp_gt_f32_e64 s[0:1], v17, v21
	v_cndmask_b32_e64 v1, v21, v17, s[0:1]
	v_cmp_gt_f32_e64 s[0:1], v1, v20
	v_cndmask_b32_e64 v1, v20, v1, s[0:1]
	v_cmp_gt_f32_e64 s[0:1], v1, v19
	v_cndmask_b32_e64 v1, v19, v1, s[0:1]
	v_cmp_gt_f32_e64 s[0:1], v1, v23
	v_cndmask_b32_e64 v1, v23, v1, s[0:1]
	v_cmp_gt_f32_e64 s[0:1], v1, v25
	v_cndmask_b32_e64 v1, v25, v1, s[0:1]
	v_cmp_gt_f32_e64 s[0:1], v1, v24
	v_cndmask_b32_e64 v1, v24, v1, s[0:1]
	v_cmp_gt_f32_e64 s[0:1], v1, v22
	v_cndmask_b32_e64 v1, v22, v1, s[0:1]
	v_cmp_gt_f32_e64 s[0:1], v1, v27
	v_cndmask_b32_e64 v1, v27, v1, s[0:1]
	v_cmp_gt_f32_e64 s[0:1], v1, v29
	v_cndmask_b32_e64 v1, v29, v1, s[0:1]
	v_cmp_gt_f32_e64 s[0:1], v1, v28
	v_cndmask_b32_e64 v1, v28, v1, s[0:1]
	v_cmp_gt_f32_e64 s[0:1], v1, v26
	v_cndmask_b32_e64 v1, v26, v1, s[0:1]
	v_cmp_gt_f32_e64 s[0:1], v1, v31
	v_cndmask_b32_e64 v1, v31, v1, s[0:1]
	v_cmp_gt_f32_e64 s[0:1], v1, v33
	v_cndmask_b32_e64 v1, v33, v1, s[0:1]
	v_cmp_gt_f32_e64 s[0:1], v1, v32
	v_cndmask_b32_e64 v1, v32, v1, s[0:1]
	v_cmp_gt_f32_e64 s[0:1], v1, v30
	v_cndmask_b32_e64 v1, v30, v1, s[0:1]
	v_cmp_gt_f32_e64 s[0:1], v1, v35
	v_cndmask_b32_e64 v1, v35, v1, s[0:1]
	v_cmp_gt_f32_e64 s[0:1], v1, v37
	v_cndmask_b32_e64 v1, v37, v1, s[0:1]
	v_cmp_gt_f32_e64 s[0:1], v1, v36
	v_cndmask_b32_e64 v1, v36, v1, s[0:1]
	v_cmp_gt_f32_e64 s[0:1], v1, v34
	v_cndmask_b32_e64 v1, v34, v1, s[0:1]
	v_cmp_gt_f32_e64 s[0:1], v1, v38
	v_cndmask_b32_e64 v1, v38, v1, s[0:1]
	v_cmp_gt_f32_e64 s[0:1], v1, v41
	v_cndmask_b32_e64 v1, v41, v1, s[0:1]
	v_cmp_gt_f32_e64 s[0:1], v1, v40
	v_cndmask_b32_e64 v1, v40, v1, s[0:1]
	v_cmp_gt_f32_e64 s[0:1], v1, v39
	v_cndmask_b32_e64 v1, v39, v1, s[0:1]
	v_cmp_gt_f32_e64 s[0:1], v1, v11
	v_cndmask_b32_e64 v1, v11, v1, s[0:1]
	v_cmp_gt_f32_e64 s[0:1], v1, v12
	v_cndmask_b32_e64 v1, v12, v1, s[0:1]
	v_cmp_gt_f32_e64 s[0:1], v1, v10
	v_cndmask_b32_e64 v1, v10, v1, s[0:1]
	v_cmp_gt_f32_e64 s[0:1], v1, v9
	v_cndmask_b32_e64 v1, v9, v1, s[0:1]
	v_cmp_gt_f32_e64 s[0:1], v1, v15
	v_cndmask_b32_e64 v1, v15, v1, s[0:1]
	v_cmp_gt_f32_e64 s[0:1], v1, v16
	v_cndmask_b32_e64 v1, v16, v1, s[0:1]
	v_cmp_gt_f32_e64 s[0:1], v1, v14
	v_cndmask_b32_e64 v1, v14, v1, s[0:1]
	v_cmp_gt_f32_e64 s[0:1], v1, v13
	v_cndmask_b32_e64 v4, v13, v1, s[0:1]
	v_mbcnt_lo_u32_b32 v1, -1, 0
	v_mbcnt_hi_u32_b32 v6, -1, v1
	v_and_b32_e32 v1, 0x60, v6
	v_add_u32_e32 v8, 32, v1
	v_xor_b32_e32 v1, 16, v6
	v_cmp_lt_i32_e64 s[0:1], v1, v8
	v_cndmask_b32_e64 v1, v6, v1, s[0:1]
	v_lshlrev_b32_e32 v1, 2, v1
	ds_bpermute_b32 v5, v1, v4
	s_mov_b32 s15, 0x3fb8aa3b
	s_mov_b32 s33, 0xc2ce8ed0
	v_mov_b32_e32 v47, 0x7f800000
	s_waitcnt lgkmcnt(0)
	v_cmp_lt_f32_e64 s[0:1], v4, v5
	v_cndmask_b32_e64 v5, v4, v5, s[0:1]
	v_xor_b32_e32 v4, 8, v6
	v_cmp_lt_i32_e64 s[0:1], v4, v8
	v_cndmask_b32_e64 v4, v6, v4, s[0:1]
	v_lshlrev_b32_e32 v4, 2, v4
	ds_bpermute_b32 v7, v4, v5
	s_waitcnt lgkmcnt(0)
	v_cmp_lt_f32_e64 s[0:1], v5, v7
	v_cndmask_b32_e64 v7, v5, v7, s[0:1]
	v_xor_b32_e32 v5, 4, v6
	v_cmp_lt_i32_e64 s[0:1], v5, v8
	v_cndmask_b32_e64 v5, v6, v5, s[0:1]
	v_lshlrev_b32_e32 v5, 2, v5
	ds_bpermute_b32 v18, v5, v7
	;; [unrolled: 8-line block ×4, first 2 shown]
	s_waitcnt lgkmcnt(0)
	v_cmp_lt_f32_e64 s[0:1], v18, v6
	v_cndmask_b32_e64 v6, v18, v6, s[0:1]
	v_sub_f32_e32 v18, v17, v6
	v_mul_f32_e32 v17, 0x3fb8aa3b, v18
	v_fma_f32 v42, v18, s15, -v17
	v_rndne_f32_e32 v43, v17
	v_fmac_f32_e32 v42, 0x32a5705f, v18
	v_sub_f32_e32 v17, v17, v43
	v_add_f32_e32 v17, v17, v42
	v_exp_f32_e32 v17, v17
	v_cvt_i32_f32_e32 v42, v43
	s_mov_b32 s0, 0x42b17218
	v_sub_f32_e32 v20, v20, v6
	v_sub_f32_e32 v19, v19, v6
	v_ldexp_f32 v17, v17, v42
	v_sub_f32_e32 v42, v21, v6
	v_mul_f32_e32 v21, 0x3fb8aa3b, v42
	v_fma_f32 v43, v42, s15, -v21
	v_rndne_f32_e32 v44, v21
	v_fmac_f32_e32 v43, 0x32a5705f, v42
	v_sub_f32_e32 v21, v21, v44
	v_add_f32_e32 v21, v21, v43
	v_exp_f32_e32 v21, v21
	v_cvt_i32_f32_e32 v43, v44
	v_cmp_ngt_f32_e64 s[46:47], s33, v42
	v_cmp_nlt_f32_e64 s[2:3], s0, v42
	v_mul_f32_e32 v42, 0x3fb8aa3b, v20
	v_ldexp_f32 v21, v21, v43
	v_fma_f32 v43, v20, s15, -v42
	v_rndne_f32_e32 v44, v42
	v_fmac_f32_e32 v43, 0x32a5705f, v20
	v_sub_f32_e32 v42, v42, v44
	v_add_f32_e32 v42, v42, v43
	v_exp_f32_e32 v42, v42
	v_cvt_i32_f32_e32 v43, v44
	v_writelane_b32 v56, s2, 2
	v_writelane_b32 v56, s3, 3
	v_cmp_ngt_f32_e64 s[50:51], s33, v20
	v_cmp_nlt_f32_e64 s[2:3], s0, v20
	v_mul_f32_e32 v20, 0x3fb8aa3b, v19
	v_ldexp_f32 v42, v42, v43
	v_fma_f32 v43, v19, s15, -v20
	v_rndne_f32_e32 v44, v20
	v_fmac_f32_e32 v43, 0x32a5705f, v19
	v_sub_f32_e32 v20, v20, v44
	v_add_f32_e32 v20, v20, v43
	v_exp_f32_e32 v20, v20
	v_cvt_i32_f32_e32 v43, v44
	v_cmp_ngt_f32_e64 s[48:49], s33, v19
	v_cmp_nlt_f32_e64 s[4:5], s0, v19
	v_sub_f32_e32 v19, v23, v6
	v_ldexp_f32 v43, v20, v43
	v_mul_f32_e32 v20, 0x3fb8aa3b, v19
	v_fma_f32 v23, v19, s15, -v20
	v_rndne_f32_e32 v44, v20
	v_fmac_f32_e32 v23, 0x32a5705f, v19
	v_sub_f32_e32 v20, v20, v44
	v_add_f32_e32 v20, v20, v23
	v_exp_f32_e32 v20, v20
	v_cvt_i32_f32_e32 v23, v44
	v_cmp_ngt_f32_e64 s[54:55], s33, v19
	v_cmp_nlt_f32_e64 s[6:7], s0, v19
	v_sub_f32_e32 v19, v25, v6
	v_ldexp_f32 v44, v20, v23
	v_mul_f32_e32 v20, 0x3fb8aa3b, v19
	;; [unrolled: 12-line block ×5, first 2 shown]
	v_fma_f32 v22, v19, s15, -v20
	v_rndne_f32_e32 v27, v20
	v_fmac_f32_e32 v22, 0x32a5705f, v19
	v_sub_f32_e32 v20, v20, v27
	v_add_f32_e32 v20, v20, v22
	v_exp_f32_e32 v20, v20
	v_cvt_i32_f32_e32 v22, v27
	v_writelane_b32 v56, s2, 4
	v_writelane_b32 v56, s3, 5
	v_cmp_ngt_f32_e64 s[62:63], s33, v19
	v_cmp_nlt_f32_e64 s[2:3], s0, v19
	v_sub_f32_e32 v19, v29, v6
	v_ldexp_f32 v45, v20, v22
	v_mul_f32_e32 v20, 0x3fb8aa3b, v19
	v_fma_f32 v22, v19, s15, -v20
	v_rndne_f32_e32 v27, v20
	v_fmac_f32_e32 v22, 0x32a5705f, v19
	v_sub_f32_e32 v20, v20, v27
	v_add_f32_e32 v20, v20, v22
	v_exp_f32_e32 v20, v20
	v_cvt_i32_f32_e32 v22, v27
	v_cmp_ngt_f32_e64 s[60:61], s33, v19
	v_cmp_nlt_f32_e64 s[16:17], s0, v19
	v_sub_f32_e32 v19, v28, v6
	v_ldexp_f32 v27, v20, v22
	v_mul_f32_e32 v20, 0x3fb8aa3b, v19
	v_fma_f32 v22, v19, s15, -v20
	v_rndne_f32_e32 v28, v20
	v_fmac_f32_e32 v22, 0x32a5705f, v19
	v_sub_f32_e32 v20, v20, v28
	v_add_f32_e32 v20, v20, v22
	v_exp_f32_e32 v20, v20
	v_cvt_i32_f32_e32 v22, v28
	;; [unrolled: 12-line block ×14, first 2 shown]
	v_cmp_ngt_f32_e64 s[88:89], s33, v19
	v_cmp_nlt_f32_e64 s[44:45], s0, v19
	v_sub_f32_e32 v41, v11, v6
	v_ldexp_f32 v40, v20, v22
	v_sub_f32_e32 v22, v39, v6
	v_mul_f32_e32 v20, 0x3fb8aa3b, v22
	v_fma_f32 v19, v22, s15, -v20
	v_rndne_f32_e32 v39, v20
	v_fmac_f32_e32 v19, 0x32a5705f, v22
	v_sub_f32_e32 v20, v20, v39
	v_add_f32_e32 v19, v20, v19
	v_exp_f32_e32 v19, v19
	v_cvt_i32_f32_e32 v20, v39
	v_mul_f32_e32 v11, 0x3fb8aa3b, v41
	v_cmp_ngt_f32_e64 s[90:91], s33, v22
	v_cmp_ngt_f32_e64 s[92:93], s33, v41
	v_ldexp_f32 v39, v19, v20
	v_cndmask_b32_e64 v20, 0, v21, s[46:47]
	v_cmp_nlt_f32_e64 s[46:47], s0, v22
	v_fma_f32 v21, v41, s15, -v11
	v_rndne_f32_e32 v22, v11
	v_fmac_f32_e32 v21, 0x32a5705f, v41
	v_sub_f32_e32 v11, v11, v22
	v_add_f32_e32 v11, v11, v21
	v_exp_f32_e32 v11, v11
	v_cvt_i32_f32_e32 v21, v22
	v_cndmask_b32_e64 v19, 0, v42, s[50:51]
	v_ldexp_f32 v42, v11, v21
	v_cndmask_b32_e64 v11, 0, v43, s[48:49]
	v_sub_f32_e32 v43, v12, v6
	v_mul_f32_e32 v12, 0x3fb8aa3b, v43
	v_cmp_nlt_f32_e64 s[48:49], s0, v41
	v_fma_f32 v22, v43, s15, -v12
	v_rndne_f32_e32 v41, v12
	v_fmac_f32_e32 v22, 0x32a5705f, v43
	v_sub_f32_e32 v12, v12, v41
	v_add_f32_e32 v12, v12, v22
	v_exp_f32_e32 v12, v12
	v_cvt_i32_f32_e32 v22, v41
	v_cmp_ngt_f32_e64 s[94:95], s33, v43
	v_cmp_nlt_f32_e64 s[50:51], s0, v43
	v_cndmask_b32_e64 v21, 0, v44, s[54:55]
	v_ldexp_f32 v41, v12, v22
	v_cndmask_b32_e64 v22, 0, v25, s[58:59]
	v_sub_f32_e32 v25, v10, v6
	v_mul_f32_e32 v10, 0x3fb8aa3b, v25
	v_cndmask_b32_e64 v12, 0, v23, s[52:53]
	v_fma_f32 v23, v25, s15, -v10
	v_rndne_f32_e32 v43, v10
	v_fmac_f32_e32 v23, 0x32a5705f, v25
	v_sub_f32_e32 v10, v10, v43
	v_add_f32_e32 v10, v10, v23
	v_exp_f32_e32 v10, v10
	v_cvt_i32_f32_e32 v23, v43
	v_sub_f32_e32 v44, v9, v6
	v_mul_f32_e32 v9, 0x3fb8aa3b, v44
	v_cmp_ngt_f32_e32 vcc, s33, v25
	v_ldexp_f32 v43, v10, v23
	v_cndmask_b32_e64 v10, 0, v24, s[56:57]
	v_cmp_nlt_f32_e64 s[52:53], s0, v25
	v_fma_f32 v24, v44, s15, -v9
	v_rndne_f32_e32 v25, v9
	v_fmac_f32_e32 v24, 0x32a5705f, v44
	v_sub_f32_e32 v9, v9, v25
	v_add_f32_e32 v9, v9, v24
	v_exp_f32_e32 v9, v9
	v_cvt_i32_f32_e32 v24, v25
	v_cndmask_b32_e64 v23, 0, v45, s[62:63]
	v_cmp_nlt_f32_e64 s[54:55], s0, v44
	v_cndmask_b32_e64 v46, v47, v23, s[2:3]
	v_ldexp_f32 v45, v9, v24
	v_cndmask_b32_e64 v9, 0, v27, s[60:61]
	v_sub_f32_e32 v27, v15, v6
	v_mul_f32_e32 v15, 0x3fb8aa3b, v27
	v_cndmask_b32_e64 v24, 0, v28, s[66:67]
	v_fma_f32 v25, v27, s15, -v15
	v_rndne_f32_e32 v28, v15
	v_fmac_f32_e32 v25, 0x32a5705f, v27
	v_sub_f32_e32 v15, v15, v28
	v_add_f32_e32 v15, v15, v25
	v_exp_f32_e32 v15, v15
	v_cvt_i32_f32_e32 v25, v28
	v_cmp_nlt_f32_e64 s[56:57], s0, v27
	v_cmp_ngt_f32_e64 s[66:67], s33, v44
	v_cndmask_b32_e64 v52, v47, v11, s[4:5]
	v_ldexp_f32 v28, v15, v25
	v_cndmask_b32_e64 v25, 0, v31, s[70:71]
	v_sub_f32_e32 v31, v16, v6
	v_mul_f32_e32 v16, 0x3fb8aa3b, v31
	v_cndmask_b32_e64 v15, 0, v26, s[64:65]
	v_cmp_ngt_f32_e64 s[70:71], s33, v27
	v_fma_f32 v26, v31, s15, -v16
	v_rndne_f32_e32 v27, v16
	v_fmac_f32_e32 v26, 0x32a5705f, v31
	v_sub_f32_e32 v16, v16, v27
	v_add_f32_e32 v16, v16, v26
	v_exp_f32_e32 v16, v16
	v_cvt_i32_f32_e32 v26, v27
	v_cmp_nlt_f32_e64 s[58:59], s0, v31
	v_cmp_nlt_f32_e64 s[64:65], s0, v18
	v_cndmask_b32_e64 v51, v47, v21, s[6:7]
	v_ldexp_f32 v27, v16, v26
	v_cndmask_b32_e64 v16, 0, v29, s[68:69]
	v_sub_f32_e32 v29, v14, v6
	v_mul_f32_e32 v14, 0x3fb8aa3b, v29
	v_cndmask_b32_e64 v26, 0, v33, s[76:77]
	v_cmp_ngt_f32_e64 s[68:69], s33, v31
	v_fma_f32 v31, v29, s15, -v14
	v_rndne_f32_e32 v33, v14
	v_fmac_f32_e32 v31, 0x32a5705f, v29
	v_sub_f32_e32 v14, v14, v33
	v_add_f32_e32 v14, v14, v31
	v_exp_f32_e32 v14, v14
	v_cvt_i32_f32_e32 v31, v33
	v_sub_f32_e32 v33, v13, v6
	v_mul_f32_e32 v13, 0x3fb8aa3b, v33
	v_cmp_nlt_f32_e64 s[60:61], s0, v29
	v_ldexp_f32 v31, v14, v31
	v_cndmask_b32_e64 v14, 0, v30, s[72:73]
	v_cmp_ngt_f32_e64 s[72:73], s33, v29
	v_fma_f32 v30, v33, s15, -v13
	v_rndne_f32_e32 v29, v13
	v_fmac_f32_e32 v30, 0x32a5705f, v33
	v_sub_f32_e32 v13, v13, v29
	v_add_f32_e32 v13, v13, v30
	v_exp_f32_e32 v30, v13
	v_cvt_i32_f32_e32 v29, v29
	v_cmp_nlt_f32_e64 s[62:63], s0, v33
	v_readlane_b32 s0, v56, 2
	v_cmp_ngt_f32_e64 s[76:77], s33, v18
	v_readlane_b32 s1, v56, 3
	v_cndmask_b32_e64 v17, 0, v17, s[76:77]
	v_cndmask_b32_e64 v54, v47, v20, s[0:1]
	v_readlane_b32 s0, v56, 4
	v_ldexp_f32 v44, v30, v29
	v_cndmask_b32_e64 v29, 0, v35, s[78:79]
	v_cndmask_b32_e64 v55, v47, v17, s[64:65]
	v_readlane_b32 s1, v56, 5
	v_cndmask_b32_e64 v53, v47, v19, s[0:1]
	v_cndmask_b32_e64 v23, v47, v29, s[34:35]
	v_add_f32_e32 v29, v55, v54
	v_add_f32_e32 v29, v29, v53
	;; [unrolled: 1-line block ×3, first 2 shown]
	v_cndmask_b32_e64 v50, v47, v12, s[8:9]
	v_add_f32_e32 v29, v29, v51
	v_cndmask_b32_e64 v49, v47, v22, s[10:11]
	v_add_f32_e32 v29, v29, v50
	;; [unrolled: 2-line block ×3, first 2 shown]
	v_add_f32_e32 v29, v29, v48
	v_cndmask_b32_e64 v13, 0, v32, s[74:75]
	v_cmp_ngt_f32_e64 s[74:75], s33, v33
	v_cndmask_b32_e64 v33, 0, v37, s[84:85]
	v_cndmask_b32_e64 v37, 0, v39, s[90:91]
	;; [unrolled: 1-line block ×5, first 2 shown]
	v_add_f32_e32 v29, v29, v46
	v_cndmask_b32_e64 v32, 0, v34, s[82:83]
	v_cndmask_b32_e64 v34, 0, v31, s[72:73]
	v_cndmask_b32_e64 v31, 0, v44, s[74:75]
	v_cndmask_b32_e64 v44, v47, v24, s[18:19]
	v_add_f32_e32 v29, v29, v45
	v_cndmask_b32_e64 v30, 0, v36, s[80:81]
	v_cndmask_b32_e64 v36, 0, v40, s[88:89]
	v_cndmask_b32_e32 v40, 0, v43, vcc
	v_cndmask_b32_e64 v43, v47, v15, s[20:21]
	v_add_f32_e32 v29, v29, v44
	v_cndmask_b32_e64 v18, 0, v38, s[86:87]
	v_cndmask_b32_e64 v38, 0, v42, s[92:93]
	;; [unrolled: 1-line block ×4, first 2 shown]
	v_add_f32_e32 v29, v29, v43
	v_cndmask_b32_e64 v35, 0, v27, s[68:69]
	v_cndmask_b32_e64 v27, v47, v16, s[24:25]
	v_add_f32_e32 v29, v29, v28
	v_cndmask_b32_e64 v26, v47, v26, s[26:27]
	v_add_f32_e32 v29, v29, v27
	;; [unrolled: 2-line block ×4, first 2 shown]
	v_add_f32_e32 v29, v29, v24
	v_cndmask_b32_e64 v22, v47, v30, s[36:37]
	v_add_f32_e32 v29, v29, v23
	v_cndmask_b32_e64 v21, v47, v32, s[38:39]
	v_add_f32_e32 v29, v29, v22
	v_cndmask_b32_e64 v20, v47, v33, s[40:41]
	v_add_f32_e32 v29, v29, v21
	v_cndmask_b32_e64 v19, v47, v18, s[42:43]
	v_add_f32_e32 v29, v29, v20
	v_cndmask_b32_e64 v18, v47, v36, s[44:45]
	v_add_f32_e32 v29, v29, v19
	v_cndmask_b32_e64 v17, v47, v37, s[46:47]
	v_add_f32_e32 v29, v29, v18
	v_cndmask_b32_e64 v16, v47, v38, s[48:49]
	v_add_f32_e32 v29, v29, v17
	v_cndmask_b32_e64 v15, v47, v39, s[50:51]
	v_add_f32_e32 v29, v29, v16
	v_cndmask_b32_e64 v14, v47, v40, s[52:53]
	v_add_f32_e32 v29, v29, v15
	v_cndmask_b32_e64 v13, v47, v41, s[54:55]
	v_add_f32_e32 v29, v29, v14
	v_cndmask_b32_e64 v12, v47, v42, s[56:57]
	v_add_f32_e32 v29, v29, v13
	v_cndmask_b32_e64 v11, v47, v35, s[58:59]
	v_add_f32_e32 v29, v29, v12
	v_cndmask_b32_e64 v10, v47, v34, s[60:61]
	v_add_f32_e32 v29, v29, v11
	v_cndmask_b32_e64 v9, v47, v31, s[62:63]
	v_add_f32_e32 v29, v29, v10
	v_add_f32_e32 v29, v29, v9
	ds_bpermute_b32 v1, v1, v29
	v_readlane_b32 s0, v56, 0
	v_cmp_gt_i32_e32 vcc, s14, v0
	v_readlane_b32 s1, v56, 1
	s_and_b64 s[0:1], s[0:1], vcc
	s_waitcnt lgkmcnt(0)
	v_add_f32_e32 v1, v29, v1
	ds_bpermute_b32 v4, v4, v1
	s_waitcnt lgkmcnt(0)
	v_add_f32_e32 v1, v1, v4
	ds_bpermute_b32 v4, v5, v1
	;; [unrolled: 3-line block ×4, first 2 shown]
	s_and_saveexec_b64 s[2:3], s[0:1]
	s_cbranch_execz .LBB21_109
; %bb.37:
	s_mov_b32 s0, 0xc61c4000
	v_cmp_neq_f32_e64 s[0:1], s0, v6
	s_waitcnt lgkmcnt(0)
	v_add_f32_e32 v4, v1, v4
	v_mov_b32_e32 v5, 0
	v_mov_b32_e32 v6, 0
	s_and_saveexec_b64 s[2:3], s[0:1]
	s_cbranch_execz .LBB21_39
; %bb.38:
	v_div_scale_f32 v1, s[4:5], v4, v4, v55
	v_div_scale_f32 v6, vcc, v55, v4, v55
	s_movk_i32 s4, 0x7fff
	v_rcp_f32_e32 v7, v1
	v_fma_f32 v8, -v1, v7, 1.0
	v_fmac_f32_e32 v7, v8, v7
	v_mul_f32_e32 v8, v6, v7
	v_fma_f32 v29, -v1, v8, v6
	v_fmac_f32_e32 v8, v29, v7
	v_fma_f32 v1, -v1, v8, v6
	v_div_fmas_f32 v1, v1, v7, v8
	v_div_fixup_f32 v1, v1, v4, v55
	v_bfe_u32 v6, v1, 16, 1
	v_or_b32_e32 v7, 0x400000, v1
	v_add3_u32 v6, v6, v1, s4
	v_cmp_u_f32_e32 vcc, v1, v1
	v_cndmask_b32_e32 v1, v6, v7, vcc
	v_lshrrev_b32_e32 v6, 16, v1
.LBB21_39:
	s_or_b64 exec, exec, s[2:3]
	s_and_saveexec_b64 s[2:3], s[0:1]
	v_readlane_b32 s8, v56, 6
	v_readlane_b32 s9, v56, 7
	;; [unrolled: 1-line block ×4, first 2 shown]
	s_cbranch_execz .LBB21_41
; %bb.40:
	v_div_scale_f32 v1, s[4:5], v4, v4, v54
	v_div_scale_f32 v5, vcc, v54, v4, v54
	s_movk_i32 s4, 0x7fff
	v_rcp_f32_e32 v7, v1
	v_fma_f32 v8, -v1, v7, 1.0
	v_fmac_f32_e32 v7, v8, v7
	v_mul_f32_e32 v8, v5, v7
	v_fma_f32 v29, -v1, v8, v5
	v_fmac_f32_e32 v8, v29, v7
	v_fma_f32 v1, -v1, v8, v5
	v_div_fmas_f32 v1, v1, v7, v8
	v_div_fixup_f32 v1, v1, v4, v54
	v_bfe_u32 v5, v1, 16, 1
	v_or_b32_e32 v7, 0x400000, v1
	v_add3_u32 v5, v5, v1, s4
	v_cmp_u_f32_e32 vcc, v1, v1
	v_cndmask_b32_e32 v1, v5, v7, vcc
	v_lshrrev_b32_e32 v5, 16, v1
.LBB21_41:
	s_or_b64 exec, exec, s[2:3]
	v_mov_b32_e32 v7, 0
	v_mov_b32_e32 v8, 0
	s_and_saveexec_b64 s[2:3], s[0:1]
	s_cbranch_execz .LBB21_43
; %bb.42:
	v_div_scale_f32 v1, s[4:5], v4, v4, v53
	v_div_scale_f32 v8, vcc, v53, v4, v53
	s_movk_i32 s4, 0x7fff
	v_rcp_f32_e32 v29, v1
	v_fma_f32 v30, -v1, v29, 1.0
	v_fmac_f32_e32 v29, v30, v29
	v_mul_f32_e32 v30, v8, v29
	v_fma_f32 v31, -v1, v30, v8
	v_fmac_f32_e32 v30, v31, v29
	v_fma_f32 v1, -v1, v30, v8
	v_div_fmas_f32 v1, v1, v29, v30
	v_div_fixup_f32 v1, v1, v4, v53
	v_bfe_u32 v8, v1, 16, 1
	v_or_b32_e32 v29, 0x400000, v1
	v_add3_u32 v8, v8, v1, s4
	v_cmp_u_f32_e32 vcc, v1, v1
	v_cndmask_b32_e32 v1, v8, v29, vcc
	v_lshrrev_b32_e32 v8, 16, v1
.LBB21_43:
	s_or_b64 exec, exec, s[2:3]
	s_and_saveexec_b64 s[2:3], s[0:1]
	s_cbranch_execz .LBB21_45
; %bb.44:
	v_div_scale_f32 v1, s[4:5], v4, v4, v52
	v_div_scale_f32 v7, vcc, v52, v4, v52
	s_movk_i32 s4, 0x7fff
	v_rcp_f32_e32 v29, v1
	v_fma_f32 v30, -v1, v29, 1.0
	v_fmac_f32_e32 v29, v30, v29
	v_mul_f32_e32 v30, v7, v29
	v_fma_f32 v31, -v1, v30, v7
	v_fmac_f32_e32 v30, v31, v29
	v_fma_f32 v1, -v1, v30, v7
	v_div_fmas_f32 v1, v1, v29, v30
	v_div_fixup_f32 v1, v1, v4, v52
	v_bfe_u32 v7, v1, 16, 1
	v_or_b32_e32 v29, 0x400000, v1
	v_add3_u32 v7, v7, v1, s4
	v_cmp_u_f32_e32 vcc, v1, v1
	v_cndmask_b32_e32 v1, v7, v29, vcc
	v_lshrrev_b32_e32 v7, 16, v1
.LBB21_45:
	s_or_b64 exec, exec, s[2:3]
	v_mov_b32_e32 v29, s9
	v_add_co_u32_e32 v1, vcc, s8, v2
	v_addc_co_u32_e32 v2, vcc, v29, v3, vcc
	s_mov_b32 s2, 0x5040100
	v_add_u32_e32 v3, 0x80, v0
	v_perm_b32 v7, v7, v8, s2
	v_perm_b32 v6, v5, v6, s2
	v_cmp_gt_u32_e32 vcc, s14, v3
	global_store_dwordx2 v[1:2], v[6:7], off
	s_and_b64 exec, exec, vcc
	s_cbranch_execz .LBB21_109
; %bb.46:
	v_mov_b32_e32 v3, 0
	v_mov_b32_e32 v5, 0
	s_and_saveexec_b64 s[2:3], s[0:1]
	s_cbranch_execz .LBB21_48
; %bb.47:
	v_div_scale_f32 v5, s[4:5], v4, v4, v51
	v_div_scale_f32 v6, vcc, v51, v4, v51
	s_movk_i32 s4, 0x7fff
	v_rcp_f32_e32 v7, v5
	v_fma_f32 v8, -v5, v7, 1.0
	v_fmac_f32_e32 v7, v8, v7
	v_mul_f32_e32 v8, v6, v7
	v_fma_f32 v29, -v5, v8, v6
	v_fmac_f32_e32 v8, v29, v7
	v_fma_f32 v5, -v5, v8, v6
	v_div_fmas_f32 v5, v5, v7, v8
	v_div_fixup_f32 v5, v5, v4, v51
	v_bfe_u32 v6, v5, 16, 1
	v_or_b32_e32 v7, 0x400000, v5
	v_add3_u32 v6, v6, v5, s4
	v_cmp_u_f32_e32 vcc, v5, v5
	v_cndmask_b32_e32 v5, v6, v7, vcc
	v_lshrrev_b32_e32 v5, 16, v5
.LBB21_48:
	s_or_b64 exec, exec, s[2:3]
	s_and_saveexec_b64 s[2:3], s[0:1]
	s_cbranch_execz .LBB21_50
; %bb.49:
	v_div_scale_f32 v3, s[4:5], v4, v4, v50
	v_div_scale_f32 v6, vcc, v50, v4, v50
	s_movk_i32 s4, 0x7fff
	v_rcp_f32_e32 v7, v3
	v_fma_f32 v8, -v3, v7, 1.0
	v_fmac_f32_e32 v7, v8, v7
	v_mul_f32_e32 v8, v6, v7
	v_fma_f32 v29, -v3, v8, v6
	v_fmac_f32_e32 v8, v29, v7
	v_fma_f32 v3, -v3, v8, v6
	v_div_fmas_f32 v3, v3, v7, v8
	v_div_fixup_f32 v3, v3, v4, v50
	v_bfe_u32 v6, v3, 16, 1
	v_or_b32_e32 v7, 0x400000, v3
	v_add3_u32 v6, v6, v3, s4
	v_cmp_u_f32_e32 vcc, v3, v3
	v_cndmask_b32_e32 v3, v6, v7, vcc
	v_lshrrev_b32_e32 v3, 16, v3
.LBB21_50:
	s_or_b64 exec, exec, s[2:3]
	v_mov_b32_e32 v6, 0
	v_mov_b32_e32 v7, 0
	s_and_saveexec_b64 s[2:3], s[0:1]
	s_cbranch_execz .LBB21_52
; %bb.51:
	v_div_scale_f32 v7, s[4:5], v4, v4, v49
	v_div_scale_f32 v8, vcc, v49, v4, v49
	s_movk_i32 s4, 0x7fff
	v_rcp_f32_e32 v29, v7
	v_fma_f32 v30, -v7, v29, 1.0
	v_fmac_f32_e32 v29, v30, v29
	v_mul_f32_e32 v30, v8, v29
	v_fma_f32 v31, -v7, v30, v8
	v_fmac_f32_e32 v30, v31, v29
	v_fma_f32 v7, -v7, v30, v8
	v_div_fmas_f32 v7, v7, v29, v30
	v_div_fixup_f32 v7, v7, v4, v49
	v_bfe_u32 v8, v7, 16, 1
	v_or_b32_e32 v29, 0x400000, v7
	v_add3_u32 v8, v8, v7, s4
	v_cmp_u_f32_e32 vcc, v7, v7
	v_cndmask_b32_e32 v7, v8, v29, vcc
	v_lshrrev_b32_e32 v7, 16, v7
.LBB21_52:
	s_or_b64 exec, exec, s[2:3]
	s_and_saveexec_b64 s[2:3], s[0:1]
	s_cbranch_execz .LBB21_54
; %bb.53:
	v_div_scale_f32 v6, s[4:5], v4, v4, v48
	v_div_scale_f32 v8, vcc, v48, v4, v48
	s_movk_i32 s4, 0x7fff
	v_rcp_f32_e32 v29, v6
	v_fma_f32 v30, -v6, v29, 1.0
	v_fmac_f32_e32 v29, v30, v29
	v_mul_f32_e32 v30, v8, v29
	v_fma_f32 v31, -v6, v30, v8
	v_fmac_f32_e32 v30, v31, v29
	v_fma_f32 v6, -v6, v30, v8
	v_div_fmas_f32 v6, v6, v29, v30
	v_div_fixup_f32 v6, v6, v4, v48
	v_bfe_u32 v8, v6, 16, 1
	v_or_b32_e32 v29, 0x400000, v6
	v_add3_u32 v8, v8, v6, s4
	v_cmp_u_f32_e32 vcc, v6, v6
	v_cndmask_b32_e32 v6, v8, v29, vcc
	v_lshrrev_b32_e32 v6, 16, v6
.LBB21_54:
	s_or_b64 exec, exec, s[2:3]
	s_mov_b32 s2, 0x5040100
	v_perm_b32 v5, v3, v5, s2
	v_add_u32_e32 v3, 0x100, v0
	v_perm_b32 v6, v6, v7, s2
	v_cmp_gt_u32_e32 vcc, s14, v3
	global_store_dwordx2 v[1:2], v[5:6], off offset:256
	s_and_b64 exec, exec, vcc
	s_cbranch_execz .LBB21_109
; %bb.55:
	v_mov_b32_e32 v3, 0
	v_mov_b32_e32 v5, 0
	s_and_saveexec_b64 s[2:3], s[0:1]
	s_cbranch_execz .LBB21_57
; %bb.56:
	v_div_scale_f32 v5, s[4:5], v4, v4, v46
	v_div_scale_f32 v6, vcc, v46, v4, v46
	s_movk_i32 s4, 0x7fff
	v_rcp_f32_e32 v7, v5
	v_fma_f32 v8, -v5, v7, 1.0
	v_fmac_f32_e32 v7, v8, v7
	v_mul_f32_e32 v8, v6, v7
	v_fma_f32 v29, -v5, v8, v6
	v_fmac_f32_e32 v8, v29, v7
	v_fma_f32 v5, -v5, v8, v6
	v_div_fmas_f32 v5, v5, v7, v8
	v_div_fixup_f32 v5, v5, v4, v46
	v_bfe_u32 v6, v5, 16, 1
	v_or_b32_e32 v7, 0x400000, v5
	v_add3_u32 v6, v6, v5, s4
	v_cmp_u_f32_e32 vcc, v5, v5
	v_cndmask_b32_e32 v5, v6, v7, vcc
	v_lshrrev_b32_e32 v5, 16, v5
.LBB21_57:
	s_or_b64 exec, exec, s[2:3]
	s_and_saveexec_b64 s[2:3], s[0:1]
	s_cbranch_execz .LBB21_59
; %bb.58:
	v_div_scale_f32 v3, s[4:5], v4, v4, v45
	v_div_scale_f32 v6, vcc, v45, v4, v45
	s_movk_i32 s4, 0x7fff
	v_rcp_f32_e32 v7, v3
	v_fma_f32 v8, -v3, v7, 1.0
	v_fmac_f32_e32 v7, v8, v7
	v_mul_f32_e32 v8, v6, v7
	v_fma_f32 v29, -v3, v8, v6
	v_fmac_f32_e32 v8, v29, v7
	v_fma_f32 v3, -v3, v8, v6
	v_div_fmas_f32 v3, v3, v7, v8
	v_div_fixup_f32 v3, v3, v4, v45
	v_bfe_u32 v6, v3, 16, 1
	v_or_b32_e32 v7, 0x400000, v3
	v_add3_u32 v6, v6, v3, s4
	v_cmp_u_f32_e32 vcc, v3, v3
	v_cndmask_b32_e32 v3, v6, v7, vcc
	v_lshrrev_b32_e32 v3, 16, v3
.LBB21_59:
	s_or_b64 exec, exec, s[2:3]
	v_mov_b32_e32 v6, 0
	v_mov_b32_e32 v7, 0
	s_and_saveexec_b64 s[2:3], s[0:1]
	s_cbranch_execz .LBB21_61
; %bb.60:
	v_div_scale_f32 v7, s[4:5], v4, v4, v44
	v_div_scale_f32 v8, vcc, v44, v4, v44
	s_movk_i32 s4, 0x7fff
	v_rcp_f32_e32 v29, v7
	v_fma_f32 v30, -v7, v29, 1.0
	v_fmac_f32_e32 v29, v30, v29
	v_mul_f32_e32 v30, v8, v29
	v_fma_f32 v31, -v7, v30, v8
	v_fmac_f32_e32 v30, v31, v29
	v_fma_f32 v7, -v7, v30, v8
	v_div_fmas_f32 v7, v7, v29, v30
	v_div_fixup_f32 v7, v7, v4, v44
	v_bfe_u32 v8, v7, 16, 1
	v_or_b32_e32 v29, 0x400000, v7
	v_add3_u32 v8, v8, v7, s4
	v_cmp_u_f32_e32 vcc, v7, v7
	v_cndmask_b32_e32 v7, v8, v29, vcc
	v_lshrrev_b32_e32 v7, 16, v7
.LBB21_61:
	s_or_b64 exec, exec, s[2:3]
	s_and_saveexec_b64 s[2:3], s[0:1]
	s_cbranch_execz .LBB21_63
; %bb.62:
	v_div_scale_f32 v6, s[4:5], v4, v4, v43
	v_div_scale_f32 v8, vcc, v43, v4, v43
	s_movk_i32 s4, 0x7fff
	v_rcp_f32_e32 v29, v6
	v_fma_f32 v30, -v6, v29, 1.0
	v_fmac_f32_e32 v29, v30, v29
	v_mul_f32_e32 v30, v8, v29
	v_fma_f32 v31, -v6, v30, v8
	v_fmac_f32_e32 v30, v31, v29
	v_fma_f32 v6, -v6, v30, v8
	v_div_fmas_f32 v6, v6, v29, v30
	v_div_fixup_f32 v6, v6, v4, v43
	v_bfe_u32 v8, v6, 16, 1
	v_or_b32_e32 v29, 0x400000, v6
	v_add3_u32 v8, v8, v6, s4
	v_cmp_u_f32_e32 vcc, v6, v6
	v_cndmask_b32_e32 v6, v8, v29, vcc
	v_lshrrev_b32_e32 v6, 16, v6
.LBB21_63:
	s_or_b64 exec, exec, s[2:3]
	s_mov_b32 s2, 0x5040100
	v_perm_b32 v5, v3, v5, s2
	v_add_u32_e32 v3, 0x180, v0
	v_perm_b32 v6, v6, v7, s2
	v_cmp_gt_u32_e32 vcc, s14, v3
	global_store_dwordx2 v[1:2], v[5:6], off offset:512
	s_and_b64 exec, exec, vcc
	s_cbranch_execz .LBB21_109
; %bb.64:
	v_mov_b32_e32 v3, 0
	v_mov_b32_e32 v5, 0
	s_and_saveexec_b64 s[2:3], s[0:1]
	s_cbranch_execz .LBB21_66
; %bb.65:
	v_div_scale_f32 v5, s[4:5], v4, v4, v28
	v_div_scale_f32 v6, vcc, v28, v4, v28
	s_movk_i32 s4, 0x7fff
	v_rcp_f32_e32 v7, v5
	v_fma_f32 v8, -v5, v7, 1.0
	v_fmac_f32_e32 v7, v8, v7
	v_mul_f32_e32 v8, v6, v7
	v_fma_f32 v29, -v5, v8, v6
	v_fmac_f32_e32 v8, v29, v7
	v_fma_f32 v5, -v5, v8, v6
	v_div_fmas_f32 v5, v5, v7, v8
	v_div_fixup_f32 v5, v5, v4, v28
	v_bfe_u32 v6, v5, 16, 1
	v_or_b32_e32 v7, 0x400000, v5
	v_add3_u32 v6, v6, v5, s4
	v_cmp_u_f32_e32 vcc, v5, v5
	v_cndmask_b32_e32 v5, v6, v7, vcc
	v_lshrrev_b32_e32 v5, 16, v5
.LBB21_66:
	s_or_b64 exec, exec, s[2:3]
	s_and_saveexec_b64 s[2:3], s[0:1]
	s_cbranch_execz .LBB21_68
; %bb.67:
	v_div_scale_f32 v3, s[4:5], v4, v4, v27
	v_div_scale_f32 v6, vcc, v27, v4, v27
	s_movk_i32 s4, 0x7fff
	v_rcp_f32_e32 v7, v3
	v_fma_f32 v8, -v3, v7, 1.0
	v_fmac_f32_e32 v7, v8, v7
	v_mul_f32_e32 v8, v6, v7
	v_fma_f32 v28, -v3, v8, v6
	v_fmac_f32_e32 v8, v28, v7
	v_fma_f32 v3, -v3, v8, v6
	v_div_fmas_f32 v3, v3, v7, v8
	v_div_fixup_f32 v3, v3, v4, v27
	v_bfe_u32 v6, v3, 16, 1
	v_or_b32_e32 v7, 0x400000, v3
	v_add3_u32 v6, v6, v3, s4
	v_cmp_u_f32_e32 vcc, v3, v3
	v_cndmask_b32_e32 v3, v6, v7, vcc
	v_lshrrev_b32_e32 v3, 16, v3
.LBB21_68:
	s_or_b64 exec, exec, s[2:3]
	v_mov_b32_e32 v6, 0
	v_mov_b32_e32 v7, 0
	s_and_saveexec_b64 s[2:3], s[0:1]
	s_cbranch_execz .LBB21_70
; %bb.69:
	v_div_scale_f32 v7, s[4:5], v4, v4, v26
	v_div_scale_f32 v8, vcc, v26, v4, v26
	s_movk_i32 s4, 0x7fff
	v_rcp_f32_e32 v27, v7
	v_fma_f32 v28, -v7, v27, 1.0
	v_fmac_f32_e32 v27, v28, v27
	v_mul_f32_e32 v28, v8, v27
	v_fma_f32 v29, -v7, v28, v8
	v_fmac_f32_e32 v28, v29, v27
	v_fma_f32 v7, -v7, v28, v8
	v_div_fmas_f32 v7, v7, v27, v28
	v_div_fixup_f32 v7, v7, v4, v26
	v_bfe_u32 v8, v7, 16, 1
	v_or_b32_e32 v26, 0x400000, v7
	v_add3_u32 v8, v8, v7, s4
	v_cmp_u_f32_e32 vcc, v7, v7
	v_cndmask_b32_e32 v7, v8, v26, vcc
	v_lshrrev_b32_e32 v7, 16, v7
.LBB21_70:
	s_or_b64 exec, exec, s[2:3]
	s_and_saveexec_b64 s[2:3], s[0:1]
	s_cbranch_execz .LBB21_72
; %bb.71:
	v_div_scale_f32 v6, s[4:5], v4, v4, v25
	v_div_scale_f32 v8, vcc, v25, v4, v25
	s_movk_i32 s4, 0x7fff
	v_rcp_f32_e32 v26, v6
	v_fma_f32 v27, -v6, v26, 1.0
	v_fmac_f32_e32 v26, v27, v26
	v_mul_f32_e32 v27, v8, v26
	v_fma_f32 v28, -v6, v27, v8
	v_fmac_f32_e32 v27, v28, v26
	v_fma_f32 v6, -v6, v27, v8
	v_div_fmas_f32 v6, v6, v26, v27
	v_div_fixup_f32 v6, v6, v4, v25
	v_bfe_u32 v8, v6, 16, 1
	v_or_b32_e32 v25, 0x400000, v6
	v_add3_u32 v8, v8, v6, s4
	v_cmp_u_f32_e32 vcc, v6, v6
	v_cndmask_b32_e32 v6, v8, v25, vcc
	v_lshrrev_b32_e32 v6, 16, v6
.LBB21_72:
	s_or_b64 exec, exec, s[2:3]
	s_mov_b32 s2, 0x5040100
	v_perm_b32 v5, v3, v5, s2
	v_add_u32_e32 v3, 0x200, v0
	v_perm_b32 v6, v6, v7, s2
	v_cmp_gt_u32_e32 vcc, s14, v3
	global_store_dwordx2 v[1:2], v[5:6], off offset:768
	s_and_b64 exec, exec, vcc
	s_cbranch_execz .LBB21_109
; %bb.73:
	v_mov_b32_e32 v3, 0
	v_mov_b32_e32 v5, 0
	s_and_saveexec_b64 s[2:3], s[0:1]
	s_cbranch_execz .LBB21_75
; %bb.74:
	v_div_scale_f32 v5, s[4:5], v4, v4, v24
	v_div_scale_f32 v6, vcc, v24, v4, v24
	s_movk_i32 s4, 0x7fff
	v_rcp_f32_e32 v7, v5
	v_fma_f32 v8, -v5, v7, 1.0
	v_fmac_f32_e32 v7, v8, v7
	v_mul_f32_e32 v8, v6, v7
	v_fma_f32 v25, -v5, v8, v6
	v_fmac_f32_e32 v8, v25, v7
	v_fma_f32 v5, -v5, v8, v6
	v_div_fmas_f32 v5, v5, v7, v8
	v_div_fixup_f32 v5, v5, v4, v24
	v_bfe_u32 v6, v5, 16, 1
	v_or_b32_e32 v7, 0x400000, v5
	v_add3_u32 v6, v6, v5, s4
	v_cmp_u_f32_e32 vcc, v5, v5
	v_cndmask_b32_e32 v5, v6, v7, vcc
	v_lshrrev_b32_e32 v5, 16, v5
.LBB21_75:
	s_or_b64 exec, exec, s[2:3]
	s_and_saveexec_b64 s[2:3], s[0:1]
	s_cbranch_execz .LBB21_77
; %bb.76:
	v_div_scale_f32 v3, s[4:5], v4, v4, v23
	v_div_scale_f32 v6, vcc, v23, v4, v23
	s_movk_i32 s4, 0x7fff
	v_rcp_f32_e32 v7, v3
	v_fma_f32 v8, -v3, v7, 1.0
	v_fmac_f32_e32 v7, v8, v7
	v_mul_f32_e32 v8, v6, v7
	v_fma_f32 v24, -v3, v8, v6
	v_fmac_f32_e32 v8, v24, v7
	v_fma_f32 v3, -v3, v8, v6
	v_div_fmas_f32 v3, v3, v7, v8
	v_div_fixup_f32 v3, v3, v4, v23
	v_bfe_u32 v6, v3, 16, 1
	v_or_b32_e32 v7, 0x400000, v3
	v_add3_u32 v6, v6, v3, s4
	v_cmp_u_f32_e32 vcc, v3, v3
	v_cndmask_b32_e32 v3, v6, v7, vcc
	v_lshrrev_b32_e32 v3, 16, v3
.LBB21_77:
	s_or_b64 exec, exec, s[2:3]
	v_mov_b32_e32 v6, 0
	v_mov_b32_e32 v7, 0
	s_and_saveexec_b64 s[2:3], s[0:1]
	s_cbranch_execz .LBB21_79
; %bb.78:
	v_div_scale_f32 v7, s[4:5], v4, v4, v22
	v_div_scale_f32 v8, vcc, v22, v4, v22
	s_movk_i32 s4, 0x7fff
	v_rcp_f32_e32 v23, v7
	v_fma_f32 v24, -v7, v23, 1.0
	v_fmac_f32_e32 v23, v24, v23
	v_mul_f32_e32 v24, v8, v23
	v_fma_f32 v25, -v7, v24, v8
	v_fmac_f32_e32 v24, v25, v23
	v_fma_f32 v7, -v7, v24, v8
	v_div_fmas_f32 v7, v7, v23, v24
	v_div_fixup_f32 v7, v7, v4, v22
	v_bfe_u32 v8, v7, 16, 1
	v_or_b32_e32 v22, 0x400000, v7
	v_add3_u32 v8, v8, v7, s4
	v_cmp_u_f32_e32 vcc, v7, v7
	v_cndmask_b32_e32 v7, v8, v22, vcc
	v_lshrrev_b32_e32 v7, 16, v7
.LBB21_79:
	s_or_b64 exec, exec, s[2:3]
	s_and_saveexec_b64 s[2:3], s[0:1]
	s_cbranch_execz .LBB21_81
; %bb.80:
	v_div_scale_f32 v6, s[4:5], v4, v4, v21
	v_div_scale_f32 v8, vcc, v21, v4, v21
	s_movk_i32 s4, 0x7fff
	v_rcp_f32_e32 v22, v6
	v_fma_f32 v23, -v6, v22, 1.0
	v_fmac_f32_e32 v22, v23, v22
	v_mul_f32_e32 v23, v8, v22
	v_fma_f32 v24, -v6, v23, v8
	v_fmac_f32_e32 v23, v24, v22
	v_fma_f32 v6, -v6, v23, v8
	v_div_fmas_f32 v6, v6, v22, v23
	v_div_fixup_f32 v6, v6, v4, v21
	v_bfe_u32 v8, v6, 16, 1
	v_or_b32_e32 v21, 0x400000, v6
	v_add3_u32 v8, v8, v6, s4
	v_cmp_u_f32_e32 vcc, v6, v6
	v_cndmask_b32_e32 v6, v8, v21, vcc
	v_lshrrev_b32_e32 v6, 16, v6
.LBB21_81:
	s_or_b64 exec, exec, s[2:3]
	s_mov_b32 s2, 0x5040100
	v_perm_b32 v5, v3, v5, s2
	v_add_u32_e32 v3, 0x280, v0
	v_perm_b32 v6, v6, v7, s2
	v_cmp_gt_u32_e32 vcc, s14, v3
	global_store_dwordx2 v[1:2], v[5:6], off offset:1024
	s_and_b64 exec, exec, vcc
	s_cbranch_execz .LBB21_109
; %bb.82:
	v_mov_b32_e32 v3, 0
	v_mov_b32_e32 v5, 0
	s_and_saveexec_b64 s[2:3], s[0:1]
	s_cbranch_execz .LBB21_84
; %bb.83:
	v_div_scale_f32 v5, s[4:5], v4, v4, v20
	v_div_scale_f32 v6, vcc, v20, v4, v20
	s_movk_i32 s4, 0x7fff
	v_rcp_f32_e32 v7, v5
	v_fma_f32 v8, -v5, v7, 1.0
	v_fmac_f32_e32 v7, v8, v7
	v_mul_f32_e32 v8, v6, v7
	v_fma_f32 v21, -v5, v8, v6
	v_fmac_f32_e32 v8, v21, v7
	v_fma_f32 v5, -v5, v8, v6
	v_div_fmas_f32 v5, v5, v7, v8
	v_div_fixup_f32 v5, v5, v4, v20
	v_bfe_u32 v6, v5, 16, 1
	v_or_b32_e32 v7, 0x400000, v5
	v_add3_u32 v6, v6, v5, s4
	v_cmp_u_f32_e32 vcc, v5, v5
	v_cndmask_b32_e32 v5, v6, v7, vcc
	v_lshrrev_b32_e32 v5, 16, v5
.LBB21_84:
	s_or_b64 exec, exec, s[2:3]
	s_and_saveexec_b64 s[2:3], s[0:1]
	s_cbranch_execz .LBB21_86
; %bb.85:
	v_div_scale_f32 v3, s[4:5], v4, v4, v19
	v_div_scale_f32 v6, vcc, v19, v4, v19
	s_movk_i32 s4, 0x7fff
	v_rcp_f32_e32 v7, v3
	v_fma_f32 v8, -v3, v7, 1.0
	v_fmac_f32_e32 v7, v8, v7
	v_mul_f32_e32 v8, v6, v7
	v_fma_f32 v20, -v3, v8, v6
	v_fmac_f32_e32 v8, v20, v7
	v_fma_f32 v3, -v3, v8, v6
	v_div_fmas_f32 v3, v3, v7, v8
	v_div_fixup_f32 v3, v3, v4, v19
	v_bfe_u32 v6, v3, 16, 1
	v_or_b32_e32 v7, 0x400000, v3
	v_add3_u32 v6, v6, v3, s4
	v_cmp_u_f32_e32 vcc, v3, v3
	v_cndmask_b32_e32 v3, v6, v7, vcc
	v_lshrrev_b32_e32 v3, 16, v3
.LBB21_86:
	s_or_b64 exec, exec, s[2:3]
	v_mov_b32_e32 v6, 0
	v_mov_b32_e32 v7, 0
	s_and_saveexec_b64 s[2:3], s[0:1]
	s_cbranch_execz .LBB21_88
; %bb.87:
	v_div_scale_f32 v7, s[4:5], v4, v4, v18
	v_div_scale_f32 v8, vcc, v18, v4, v18
	s_movk_i32 s4, 0x7fff
	v_rcp_f32_e32 v19, v7
	v_fma_f32 v20, -v7, v19, 1.0
	v_fmac_f32_e32 v19, v20, v19
	v_mul_f32_e32 v20, v8, v19
	v_fma_f32 v21, -v7, v20, v8
	v_fmac_f32_e32 v20, v21, v19
	v_fma_f32 v7, -v7, v20, v8
	v_div_fmas_f32 v7, v7, v19, v20
	v_div_fixup_f32 v7, v7, v4, v18
	v_bfe_u32 v8, v7, 16, 1
	v_or_b32_e32 v18, 0x400000, v7
	v_add3_u32 v8, v8, v7, s4
	v_cmp_u_f32_e32 vcc, v7, v7
	v_cndmask_b32_e32 v7, v8, v18, vcc
	v_lshrrev_b32_e32 v7, 16, v7
.LBB21_88:
	s_or_b64 exec, exec, s[2:3]
	s_and_saveexec_b64 s[2:3], s[0:1]
	s_cbranch_execz .LBB21_90
; %bb.89:
	v_div_scale_f32 v6, s[4:5], v4, v4, v17
	v_div_scale_f32 v8, vcc, v17, v4, v17
	s_movk_i32 s4, 0x7fff
	v_rcp_f32_e32 v18, v6
	v_fma_f32 v19, -v6, v18, 1.0
	v_fmac_f32_e32 v18, v19, v18
	v_mul_f32_e32 v19, v8, v18
	v_fma_f32 v20, -v6, v19, v8
	v_fmac_f32_e32 v19, v20, v18
	v_fma_f32 v6, -v6, v19, v8
	v_div_fmas_f32 v6, v6, v18, v19
	v_div_fixup_f32 v6, v6, v4, v17
	v_bfe_u32 v8, v6, 16, 1
	v_or_b32_e32 v17, 0x400000, v6
	v_add3_u32 v8, v8, v6, s4
	v_cmp_u_f32_e32 vcc, v6, v6
	v_cndmask_b32_e32 v6, v8, v17, vcc
	v_lshrrev_b32_e32 v6, 16, v6
.LBB21_90:
	s_or_b64 exec, exec, s[2:3]
	s_mov_b32 s2, 0x5040100
	v_perm_b32 v5, v3, v5, s2
	v_add_u32_e32 v3, 0x300, v0
	v_perm_b32 v6, v6, v7, s2
	v_cmp_gt_u32_e32 vcc, s14, v3
	global_store_dwordx2 v[1:2], v[5:6], off offset:1280
	s_and_b64 exec, exec, vcc
	s_cbranch_execz .LBB21_109
; %bb.91:
	v_mov_b32_e32 v3, 0
	v_mov_b32_e32 v5, 0
	s_and_saveexec_b64 s[2:3], s[0:1]
	s_cbranch_execz .LBB21_93
; %bb.92:
	v_div_scale_f32 v5, s[4:5], v4, v4, v16
	v_div_scale_f32 v6, vcc, v16, v4, v16
	s_movk_i32 s4, 0x7fff
	v_rcp_f32_e32 v7, v5
	v_fma_f32 v8, -v5, v7, 1.0
	v_fmac_f32_e32 v7, v8, v7
	v_mul_f32_e32 v8, v6, v7
	v_fma_f32 v17, -v5, v8, v6
	v_fmac_f32_e32 v8, v17, v7
	v_fma_f32 v5, -v5, v8, v6
	v_div_fmas_f32 v5, v5, v7, v8
	v_div_fixup_f32 v5, v5, v4, v16
	v_bfe_u32 v6, v5, 16, 1
	v_or_b32_e32 v7, 0x400000, v5
	v_add3_u32 v6, v6, v5, s4
	v_cmp_u_f32_e32 vcc, v5, v5
	v_cndmask_b32_e32 v5, v6, v7, vcc
	v_lshrrev_b32_e32 v5, 16, v5
.LBB21_93:
	s_or_b64 exec, exec, s[2:3]
	s_and_saveexec_b64 s[2:3], s[0:1]
	s_cbranch_execz .LBB21_95
; %bb.94:
	v_div_scale_f32 v3, s[4:5], v4, v4, v15
	v_div_scale_f32 v6, vcc, v15, v4, v15
	s_movk_i32 s4, 0x7fff
	v_rcp_f32_e32 v7, v3
	v_fma_f32 v8, -v3, v7, 1.0
	v_fmac_f32_e32 v7, v8, v7
	v_mul_f32_e32 v8, v6, v7
	v_fma_f32 v16, -v3, v8, v6
	v_fmac_f32_e32 v8, v16, v7
	v_fma_f32 v3, -v3, v8, v6
	v_div_fmas_f32 v3, v3, v7, v8
	v_div_fixup_f32 v3, v3, v4, v15
	v_bfe_u32 v6, v3, 16, 1
	v_or_b32_e32 v7, 0x400000, v3
	v_add3_u32 v6, v6, v3, s4
	v_cmp_u_f32_e32 vcc, v3, v3
	v_cndmask_b32_e32 v3, v6, v7, vcc
	v_lshrrev_b32_e32 v3, 16, v3
.LBB21_95:
	s_or_b64 exec, exec, s[2:3]
	v_mov_b32_e32 v6, 0
	v_mov_b32_e32 v7, 0
	s_and_saveexec_b64 s[2:3], s[0:1]
	s_cbranch_execz .LBB21_97
; %bb.96:
	v_div_scale_f32 v7, s[4:5], v4, v4, v14
	v_div_scale_f32 v8, vcc, v14, v4, v14
	s_movk_i32 s4, 0x7fff
	v_rcp_f32_e32 v15, v7
	v_fma_f32 v16, -v7, v15, 1.0
	v_fmac_f32_e32 v15, v16, v15
	v_mul_f32_e32 v16, v8, v15
	v_fma_f32 v17, -v7, v16, v8
	v_fmac_f32_e32 v16, v17, v15
	v_fma_f32 v7, -v7, v16, v8
	v_div_fmas_f32 v7, v7, v15, v16
	v_div_fixup_f32 v7, v7, v4, v14
	v_bfe_u32 v8, v7, 16, 1
	v_or_b32_e32 v14, 0x400000, v7
	v_add3_u32 v8, v8, v7, s4
	v_cmp_u_f32_e32 vcc, v7, v7
	v_cndmask_b32_e32 v7, v8, v14, vcc
	v_lshrrev_b32_e32 v7, 16, v7
.LBB21_97:
	s_or_b64 exec, exec, s[2:3]
	s_and_saveexec_b64 s[2:3], s[0:1]
	s_cbranch_execz .LBB21_99
; %bb.98:
	v_div_scale_f32 v6, s[4:5], v4, v4, v13
	v_div_scale_f32 v8, vcc, v13, v4, v13
	s_movk_i32 s4, 0x7fff
	v_rcp_f32_e32 v14, v6
	v_fma_f32 v15, -v6, v14, 1.0
	v_fmac_f32_e32 v14, v15, v14
	v_mul_f32_e32 v15, v8, v14
	v_fma_f32 v16, -v6, v15, v8
	v_fmac_f32_e32 v15, v16, v14
	v_fma_f32 v6, -v6, v15, v8
	v_div_fmas_f32 v6, v6, v14, v15
	v_div_fixup_f32 v6, v6, v4, v13
	v_bfe_u32 v8, v6, 16, 1
	v_or_b32_e32 v13, 0x400000, v6
	v_add3_u32 v8, v8, v6, s4
	v_cmp_u_f32_e32 vcc, v6, v6
	v_cndmask_b32_e32 v6, v8, v13, vcc
	v_lshrrev_b32_e32 v6, 16, v6
.LBB21_99:
	s_or_b64 exec, exec, s[2:3]
	s_mov_b32 s2, 0x5040100
	v_add_u32_e32 v0, 0x380, v0
	v_perm_b32 v6, v6, v7, s2
	v_perm_b32 v5, v3, v5, s2
	v_cmp_gt_u32_e32 vcc, s14, v0
	global_store_dwordx2 v[1:2], v[5:6], off offset:1536
	s_and_b64 exec, exec, vcc
	s_cbranch_execz .LBB21_109
; %bb.100:
	v_mov_b32_e32 v0, 0
	v_mov_b32_e32 v3, 0
	s_and_saveexec_b64 s[2:3], s[0:1]
	s_cbranch_execz .LBB21_102
; %bb.101:
	v_div_scale_f32 v3, s[4:5], v4, v4, v12
	v_div_scale_f32 v5, vcc, v12, v4, v12
	s_movk_i32 s4, 0x7fff
	v_rcp_f32_e32 v6, v3
	v_fma_f32 v7, -v3, v6, 1.0
	v_fmac_f32_e32 v6, v7, v6
	v_mul_f32_e32 v7, v5, v6
	v_fma_f32 v8, -v3, v7, v5
	v_fmac_f32_e32 v7, v8, v6
	v_fma_f32 v3, -v3, v7, v5
	v_div_fmas_f32 v3, v3, v6, v7
	v_div_fixup_f32 v3, v3, v4, v12
	v_bfe_u32 v5, v3, 16, 1
	v_or_b32_e32 v6, 0x400000, v3
	v_add3_u32 v5, v5, v3, s4
	v_cmp_u_f32_e32 vcc, v3, v3
	v_cndmask_b32_e32 v3, v5, v6, vcc
	v_lshrrev_b32_e32 v3, 16, v3
.LBB21_102:
	s_or_b64 exec, exec, s[2:3]
	s_and_saveexec_b64 s[2:3], s[0:1]
	s_cbranch_execz .LBB21_104
; %bb.103:
	v_div_scale_f32 v0, s[4:5], v4, v4, v11
	v_div_scale_f32 v5, vcc, v11, v4, v11
	s_movk_i32 s4, 0x7fff
	v_rcp_f32_e32 v6, v0
	v_fma_f32 v7, -v0, v6, 1.0
	v_fmac_f32_e32 v6, v7, v6
	v_mul_f32_e32 v7, v5, v6
	v_fma_f32 v8, -v0, v7, v5
	v_fmac_f32_e32 v7, v8, v6
	v_fma_f32 v0, -v0, v7, v5
	v_div_fmas_f32 v0, v0, v6, v7
	v_div_fixup_f32 v0, v0, v4, v11
	v_bfe_u32 v5, v0, 16, 1
	v_or_b32_e32 v6, 0x400000, v0
	v_add3_u32 v5, v5, v0, s4
	v_cmp_u_f32_e32 vcc, v0, v0
	v_cndmask_b32_e32 v0, v5, v6, vcc
	v_lshrrev_b32_e32 v0, 16, v0
.LBB21_104:
	s_or_b64 exec, exec, s[2:3]
	v_mov_b32_e32 v5, 0
	v_mov_b32_e32 v6, 0
	s_and_saveexec_b64 s[2:3], s[0:1]
	s_cbranch_execz .LBB21_106
; %bb.105:
	v_div_scale_f32 v6, s[4:5], v4, v4, v10
	v_div_scale_f32 v7, vcc, v10, v4, v10
	s_movk_i32 s4, 0x7fff
	v_rcp_f32_e32 v8, v6
	v_fma_f32 v11, -v6, v8, 1.0
	v_fmac_f32_e32 v8, v11, v8
	v_mul_f32_e32 v11, v7, v8
	v_fma_f32 v12, -v6, v11, v7
	v_fmac_f32_e32 v11, v12, v8
	v_fma_f32 v6, -v6, v11, v7
	v_div_fmas_f32 v6, v6, v8, v11
	v_div_fixup_f32 v6, v6, v4, v10
	v_bfe_u32 v7, v6, 16, 1
	v_or_b32_e32 v8, 0x400000, v6
	v_add3_u32 v7, v7, v6, s4
	v_cmp_u_f32_e32 vcc, v6, v6
	v_cndmask_b32_e32 v6, v7, v8, vcc
	v_lshrrev_b32_e32 v6, 16, v6
.LBB21_106:
	s_or_b64 exec, exec, s[2:3]
	s_and_saveexec_b64 s[2:3], s[0:1]
	s_cbranch_execz .LBB21_108
; %bb.107:
	v_div_scale_f32 v5, s[0:1], v4, v4, v9
	v_div_scale_f32 v7, vcc, v9, v4, v9
	s_movk_i32 s0, 0x7fff
	v_rcp_f32_e32 v8, v5
	v_fma_f32 v10, -v5, v8, 1.0
	v_fmac_f32_e32 v8, v10, v8
	v_mul_f32_e32 v10, v7, v8
	v_fma_f32 v11, -v5, v10, v7
	v_fmac_f32_e32 v10, v11, v8
	v_fma_f32 v5, -v5, v10, v7
	v_div_fmas_f32 v5, v5, v8, v10
	v_div_fixup_f32 v4, v5, v4, v9
	v_bfe_u32 v5, v4, 16, 1
	v_or_b32_e32 v7, 0x400000, v4
	v_add3_u32 v5, v5, v4, s0
	v_cmp_u_f32_e32 vcc, v4, v4
	v_cndmask_b32_e32 v4, v5, v7, vcc
	v_lshrrev_b32_e32 v5, 16, v4
.LBB21_108:
	s_or_b64 exec, exec, s[2:3]
	s_mov_b32 s0, 0x5040100
	v_perm_b32 v4, v5, v6, s0
	v_perm_b32 v3, v0, v3, s0
	global_store_dwordx2 v[1:2], v[3:4], off offset:1792
.LBB21_109:
	s_endpgm
	.section	.rodata,"a",@progbits
	.p2align	6, 0x0
	.amdhsa_kernel _Z34scaled_masked_softmax_warp_forwardI14__hip_bfloat16S0_fLi10EEvPT0_PKT_PKhT1_iii
		.amdhsa_group_segment_fixed_size 0
		.amdhsa_private_segment_fixed_size 0
		.amdhsa_kernarg_size 296
		.amdhsa_user_sgpr_count 6
		.amdhsa_user_sgpr_private_segment_buffer 1
		.amdhsa_user_sgpr_dispatch_ptr 0
		.amdhsa_user_sgpr_queue_ptr 0
		.amdhsa_user_sgpr_kernarg_segment_ptr 1
		.amdhsa_user_sgpr_dispatch_id 0
		.amdhsa_user_sgpr_flat_scratch_init 0
		.amdhsa_user_sgpr_private_segment_size 0
		.amdhsa_uses_dynamic_stack 0
		.amdhsa_system_sgpr_private_segment_wavefront_offset 0
		.amdhsa_system_sgpr_workgroup_id_x 1
		.amdhsa_system_sgpr_workgroup_id_y 1
		.amdhsa_system_sgpr_workgroup_id_z 1
		.amdhsa_system_sgpr_workgroup_info 0
		.amdhsa_system_vgpr_workitem_id 1
		.amdhsa_next_free_vgpr 57
		.amdhsa_next_free_sgpr 96
		.amdhsa_reserve_vcc 1
		.amdhsa_reserve_flat_scratch 0
		.amdhsa_float_round_mode_32 0
		.amdhsa_float_round_mode_16_64 0
		.amdhsa_float_denorm_mode_32 3
		.amdhsa_float_denorm_mode_16_64 3
		.amdhsa_dx10_clamp 1
		.amdhsa_ieee_mode 1
		.amdhsa_fp16_overflow 0
		.amdhsa_exception_fp_ieee_invalid_op 0
		.amdhsa_exception_fp_denorm_src 0
		.amdhsa_exception_fp_ieee_div_zero 0
		.amdhsa_exception_fp_ieee_overflow 0
		.amdhsa_exception_fp_ieee_underflow 0
		.amdhsa_exception_fp_ieee_inexact 0
		.amdhsa_exception_int_div_zero 0
	.end_amdhsa_kernel
	.section	.text._Z34scaled_masked_softmax_warp_forwardI14__hip_bfloat16S0_fLi10EEvPT0_PKT_PKhT1_iii,"axG",@progbits,_Z34scaled_masked_softmax_warp_forwardI14__hip_bfloat16S0_fLi10EEvPT0_PKT_PKhT1_iii,comdat
.Lfunc_end21:
	.size	_Z34scaled_masked_softmax_warp_forwardI14__hip_bfloat16S0_fLi10EEvPT0_PKT_PKhT1_iii, .Lfunc_end21-_Z34scaled_masked_softmax_warp_forwardI14__hip_bfloat16S0_fLi10EEvPT0_PKT_PKhT1_iii
                                        ; -- End function
	.set _Z34scaled_masked_softmax_warp_forwardI14__hip_bfloat16S0_fLi10EEvPT0_PKT_PKhT1_iii.num_vgpr, 57
	.set _Z34scaled_masked_softmax_warp_forwardI14__hip_bfloat16S0_fLi10EEvPT0_PKT_PKhT1_iii.num_agpr, 0
	.set _Z34scaled_masked_softmax_warp_forwardI14__hip_bfloat16S0_fLi10EEvPT0_PKT_PKhT1_iii.numbered_sgpr, 96
	.set _Z34scaled_masked_softmax_warp_forwardI14__hip_bfloat16S0_fLi10EEvPT0_PKT_PKhT1_iii.num_named_barrier, 0
	.set _Z34scaled_masked_softmax_warp_forwardI14__hip_bfloat16S0_fLi10EEvPT0_PKT_PKhT1_iii.private_seg_size, 0
	.set _Z34scaled_masked_softmax_warp_forwardI14__hip_bfloat16S0_fLi10EEvPT0_PKT_PKhT1_iii.uses_vcc, 1
	.set _Z34scaled_masked_softmax_warp_forwardI14__hip_bfloat16S0_fLi10EEvPT0_PKT_PKhT1_iii.uses_flat_scratch, 0
	.set _Z34scaled_masked_softmax_warp_forwardI14__hip_bfloat16S0_fLi10EEvPT0_PKT_PKhT1_iii.has_dyn_sized_stack, 0
	.set _Z34scaled_masked_softmax_warp_forwardI14__hip_bfloat16S0_fLi10EEvPT0_PKT_PKhT1_iii.has_recursion, 0
	.set _Z34scaled_masked_softmax_warp_forwardI14__hip_bfloat16S0_fLi10EEvPT0_PKT_PKhT1_iii.has_indirect_call, 0
	.section	.AMDGPU.csdata,"",@progbits
; Kernel info:
; codeLenInByte = 10732
; TotalNumSgprs: 100
; NumVgprs: 57
; ScratchSize: 0
; MemoryBound: 0
; FloatMode: 240
; IeeeMode: 1
; LDSByteSize: 0 bytes/workgroup (compile time only)
; SGPRBlocks: 12
; VGPRBlocks: 14
; NumSGPRsForWavesPerEU: 100
; NumVGPRsForWavesPerEU: 57
; Occupancy: 4
; WaveLimiterHint : 0
; COMPUTE_PGM_RSRC2:SCRATCH_EN: 0
; COMPUTE_PGM_RSRC2:USER_SGPR: 6
; COMPUTE_PGM_RSRC2:TRAP_HANDLER: 0
; COMPUTE_PGM_RSRC2:TGID_X_EN: 1
; COMPUTE_PGM_RSRC2:TGID_Y_EN: 1
; COMPUTE_PGM_RSRC2:TGID_Z_EN: 1
; COMPUTE_PGM_RSRC2:TIDIG_COMP_CNT: 1
	.section	.AMDGPU.gpr_maximums,"",@progbits
	.set amdgpu.max_num_vgpr, 0
	.set amdgpu.max_num_agpr, 0
	.set amdgpu.max_num_sgpr, 0
	.section	.AMDGPU.csdata,"",@progbits
	.type	__hip_cuid_da3b8435d4001a4a,@object ; @__hip_cuid_da3b8435d4001a4a
	.section	.bss,"aw",@nobits
	.globl	__hip_cuid_da3b8435d4001a4a
__hip_cuid_da3b8435d4001a4a:
	.byte	0                               ; 0x0
	.size	__hip_cuid_da3b8435d4001a4a, 1

	.ident	"AMD clang version 22.0.0git (https://github.com/RadeonOpenCompute/llvm-project roc-7.2.4 26084 f58b06dce1f9c15707c5f808fd002e18c2accf7e)"
	.section	".note.GNU-stack","",@progbits
	.addrsig
	.addrsig_sym __hip_cuid_da3b8435d4001a4a
	.amdgpu_metadata
---
amdhsa.kernels:
  - .args:
      - .address_space:  global
        .offset:         0
        .size:           8
        .value_kind:     global_buffer
      - .address_space:  global
        .offset:         8
        .size:           8
        .value_kind:     global_buffer
      - .address_space:  global
        .offset:         16
        .size:           8
        .value_kind:     global_buffer
      - .offset:         24
        .size:           4
        .value_kind:     by_value
      - .offset:         28
        .size:           4
        .value_kind:     by_value
      - .offset:         32
        .size:           4
        .value_kind:     by_value
      - .offset:         36
        .size:           4
        .value_kind:     by_value
      - .offset:         40
        .size:           4
        .value_kind:     hidden_block_count_x
      - .offset:         44
        .size:           4
        .value_kind:     hidden_block_count_y
      - .offset:         48
        .size:           4
        .value_kind:     hidden_block_count_z
      - .offset:         52
        .size:           2
        .value_kind:     hidden_group_size_x
      - .offset:         54
        .size:           2
        .value_kind:     hidden_group_size_y
      - .offset:         56
        .size:           2
        .value_kind:     hidden_group_size_z
      - .offset:         58
        .size:           2
        .value_kind:     hidden_remainder_x
      - .offset:         60
        .size:           2
        .value_kind:     hidden_remainder_y
      - .offset:         62
        .size:           2
        .value_kind:     hidden_remainder_z
      - .offset:         80
        .size:           8
        .value_kind:     hidden_global_offset_x
      - .offset:         88
        .size:           8
        .value_kind:     hidden_global_offset_y
      - .offset:         96
        .size:           8
        .value_kind:     hidden_global_offset_z
      - .offset:         104
        .size:           2
        .value_kind:     hidden_grid_dims
    .group_segment_fixed_size: 0
    .kernarg_segment_align: 8
    .kernarg_segment_size: 296
    .language:       OpenCL C
    .language_version:
      - 2
      - 0
    .max_flat_workgroup_size: 1024
    .name:           _Z34scaled_masked_softmax_warp_forwardI6__halfS0_fLi0EEvPT0_PKT_PKhT1_iii
    .private_segment_fixed_size: 0
    .sgpr_count:     20
    .sgpr_spill_count: 0
    .symbol:         _Z34scaled_masked_softmax_warp_forwardI6__halfS0_fLi0EEvPT0_PKT_PKhT1_iii.kd
    .uniform_work_group_size: 1
    .uses_dynamic_stack: false
    .vgpr_count:     12
    .vgpr_spill_count: 0
    .wavefront_size: 64
  - .args:
      - .address_space:  global
        .offset:         0
        .size:           8
        .value_kind:     global_buffer
      - .address_space:  global
        .offset:         8
        .size:           8
        .value_kind:     global_buffer
      - .address_space:  global
        .offset:         16
        .size:           8
        .value_kind:     global_buffer
      - .offset:         24
        .size:           4
        .value_kind:     by_value
      - .offset:         28
        .size:           4
        .value_kind:     by_value
      - .offset:         32
        .size:           4
        .value_kind:     by_value
      - .offset:         36
        .size:           4
        .value_kind:     by_value
      - .offset:         40
        .size:           4
        .value_kind:     hidden_block_count_x
      - .offset:         44
        .size:           4
        .value_kind:     hidden_block_count_y
      - .offset:         48
        .size:           4
        .value_kind:     hidden_block_count_z
      - .offset:         52
        .size:           2
        .value_kind:     hidden_group_size_x
      - .offset:         54
        .size:           2
        .value_kind:     hidden_group_size_y
      - .offset:         56
        .size:           2
        .value_kind:     hidden_group_size_z
      - .offset:         58
        .size:           2
        .value_kind:     hidden_remainder_x
      - .offset:         60
        .size:           2
        .value_kind:     hidden_remainder_y
      - .offset:         62
        .size:           2
        .value_kind:     hidden_remainder_z
      - .offset:         80
        .size:           8
        .value_kind:     hidden_global_offset_x
      - .offset:         88
        .size:           8
        .value_kind:     hidden_global_offset_y
      - .offset:         96
        .size:           8
        .value_kind:     hidden_global_offset_z
      - .offset:         104
        .size:           2
        .value_kind:     hidden_grid_dims
    .group_segment_fixed_size: 0
    .kernarg_segment_align: 8
    .kernarg_segment_size: 296
    .language:       OpenCL C
    .language_version:
      - 2
      - 0
    .max_flat_workgroup_size: 1024
    .name:           _Z34scaled_masked_softmax_warp_forwardI6__halfS0_fLi1EEvPT0_PKT_PKhT1_iii
    .private_segment_fixed_size: 0
    .sgpr_count:     21
    .sgpr_spill_count: 0
    .symbol:         _Z34scaled_masked_softmax_warp_forwardI6__halfS0_fLi1EEvPT0_PKT_PKhT1_iii.kd
    .uniform_work_group_size: 1
    .uses_dynamic_stack: false
    .vgpr_count:     14
    .vgpr_spill_count: 0
    .wavefront_size: 64
  - .args:
      - .address_space:  global
        .offset:         0
        .size:           8
        .value_kind:     global_buffer
      - .address_space:  global
        .offset:         8
        .size:           8
        .value_kind:     global_buffer
      - .address_space:  global
        .offset:         16
        .size:           8
        .value_kind:     global_buffer
      - .offset:         24
        .size:           4
        .value_kind:     by_value
      - .offset:         28
        .size:           4
        .value_kind:     by_value
      - .offset:         32
        .size:           4
        .value_kind:     by_value
      - .offset:         36
        .size:           4
        .value_kind:     by_value
      - .offset:         40
        .size:           4
        .value_kind:     hidden_block_count_x
      - .offset:         44
        .size:           4
        .value_kind:     hidden_block_count_y
      - .offset:         48
        .size:           4
        .value_kind:     hidden_block_count_z
      - .offset:         52
        .size:           2
        .value_kind:     hidden_group_size_x
      - .offset:         54
        .size:           2
        .value_kind:     hidden_group_size_y
      - .offset:         56
        .size:           2
        .value_kind:     hidden_group_size_z
      - .offset:         58
        .size:           2
        .value_kind:     hidden_remainder_x
      - .offset:         60
        .size:           2
        .value_kind:     hidden_remainder_y
      - .offset:         62
        .size:           2
        .value_kind:     hidden_remainder_z
      - .offset:         80
        .size:           8
        .value_kind:     hidden_global_offset_x
      - .offset:         88
        .size:           8
        .value_kind:     hidden_global_offset_y
      - .offset:         96
        .size:           8
        .value_kind:     hidden_global_offset_z
      - .offset:         104
        .size:           2
        .value_kind:     hidden_grid_dims
    .group_segment_fixed_size: 0
    .kernarg_segment_align: 8
    .kernarg_segment_size: 296
    .language:       OpenCL C
    .language_version:
      - 2
      - 0
    .max_flat_workgroup_size: 1024
    .name:           _Z34scaled_masked_softmax_warp_forwardI6__halfS0_fLi2EEvPT0_PKT_PKhT1_iii
    .private_segment_fixed_size: 0
    .sgpr_count:     21
    .sgpr_spill_count: 0
    .symbol:         _Z34scaled_masked_softmax_warp_forwardI6__halfS0_fLi2EEvPT0_PKT_PKhT1_iii.kd
    .uniform_work_group_size: 1
    .uses_dynamic_stack: false
    .vgpr_count:     15
    .vgpr_spill_count: 0
    .wavefront_size: 64
  - .args:
      - .address_space:  global
        .offset:         0
        .size:           8
        .value_kind:     global_buffer
      - .address_space:  global
        .offset:         8
        .size:           8
        .value_kind:     global_buffer
      - .address_space:  global
        .offset:         16
        .size:           8
        .value_kind:     global_buffer
      - .offset:         24
        .size:           4
        .value_kind:     by_value
      - .offset:         28
        .size:           4
        .value_kind:     by_value
      - .offset:         32
        .size:           4
        .value_kind:     by_value
      - .offset:         36
        .size:           4
        .value_kind:     by_value
      - .offset:         40
        .size:           4
        .value_kind:     hidden_block_count_x
      - .offset:         44
        .size:           4
        .value_kind:     hidden_block_count_y
      - .offset:         48
        .size:           4
        .value_kind:     hidden_block_count_z
      - .offset:         52
        .size:           2
        .value_kind:     hidden_group_size_x
      - .offset:         54
        .size:           2
        .value_kind:     hidden_group_size_y
      - .offset:         56
        .size:           2
        .value_kind:     hidden_group_size_z
      - .offset:         58
        .size:           2
        .value_kind:     hidden_remainder_x
      - .offset:         60
        .size:           2
        .value_kind:     hidden_remainder_y
      - .offset:         62
        .size:           2
        .value_kind:     hidden_remainder_z
      - .offset:         80
        .size:           8
        .value_kind:     hidden_global_offset_x
      - .offset:         88
        .size:           8
        .value_kind:     hidden_global_offset_y
      - .offset:         96
        .size:           8
        .value_kind:     hidden_global_offset_z
      - .offset:         104
        .size:           2
        .value_kind:     hidden_grid_dims
    .group_segment_fixed_size: 0
    .kernarg_segment_align: 8
    .kernarg_segment_size: 296
    .language:       OpenCL C
    .language_version:
      - 2
      - 0
    .max_flat_workgroup_size: 1024
    .name:           _Z34scaled_masked_softmax_warp_forwardI6__halfS0_fLi3EEvPT0_PKT_PKhT1_iii
    .private_segment_fixed_size: 0
    .sgpr_count:     21
    .sgpr_spill_count: 0
    .symbol:         _Z34scaled_masked_softmax_warp_forwardI6__halfS0_fLi3EEvPT0_PKT_PKhT1_iii.kd
    .uniform_work_group_size: 1
    .uses_dynamic_stack: false
    .vgpr_count:     16
    .vgpr_spill_count: 0
    .wavefront_size: 64
  - .args:
      - .address_space:  global
        .offset:         0
        .size:           8
        .value_kind:     global_buffer
      - .address_space:  global
        .offset:         8
        .size:           8
        .value_kind:     global_buffer
      - .address_space:  global
        .offset:         16
        .size:           8
        .value_kind:     global_buffer
      - .offset:         24
        .size:           4
        .value_kind:     by_value
      - .offset:         28
        .size:           4
        .value_kind:     by_value
      - .offset:         32
        .size:           4
        .value_kind:     by_value
      - .offset:         36
        .size:           4
        .value_kind:     by_value
      - .offset:         40
        .size:           4
        .value_kind:     hidden_block_count_x
      - .offset:         44
        .size:           4
        .value_kind:     hidden_block_count_y
      - .offset:         48
        .size:           4
        .value_kind:     hidden_block_count_z
      - .offset:         52
        .size:           2
        .value_kind:     hidden_group_size_x
      - .offset:         54
        .size:           2
        .value_kind:     hidden_group_size_y
      - .offset:         56
        .size:           2
        .value_kind:     hidden_group_size_z
      - .offset:         58
        .size:           2
        .value_kind:     hidden_remainder_x
      - .offset:         60
        .size:           2
        .value_kind:     hidden_remainder_y
      - .offset:         62
        .size:           2
        .value_kind:     hidden_remainder_z
      - .offset:         80
        .size:           8
        .value_kind:     hidden_global_offset_x
      - .offset:         88
        .size:           8
        .value_kind:     hidden_global_offset_y
      - .offset:         96
        .size:           8
        .value_kind:     hidden_global_offset_z
      - .offset:         104
        .size:           2
        .value_kind:     hidden_grid_dims
    .group_segment_fixed_size: 0
    .kernarg_segment_align: 8
    .kernarg_segment_size: 296
    .language:       OpenCL C
    .language_version:
      - 2
      - 0
    .max_flat_workgroup_size: 1024
    .name:           _Z34scaled_masked_softmax_warp_forwardI6__halfS0_fLi4EEvPT0_PKT_PKhT1_iii
    .private_segment_fixed_size: 0
    .sgpr_count:     21
    .sgpr_spill_count: 0
    .symbol:         _Z34scaled_masked_softmax_warp_forwardI6__halfS0_fLi4EEvPT0_PKT_PKhT1_iii.kd
    .uniform_work_group_size: 1
    .uses_dynamic_stack: false
    .vgpr_count:     16
    .vgpr_spill_count: 0
    .wavefront_size: 64
  - .args:
      - .address_space:  global
        .offset:         0
        .size:           8
        .value_kind:     global_buffer
      - .address_space:  global
        .offset:         8
        .size:           8
        .value_kind:     global_buffer
      - .address_space:  global
        .offset:         16
        .size:           8
        .value_kind:     global_buffer
      - .offset:         24
        .size:           4
        .value_kind:     by_value
      - .offset:         28
        .size:           4
        .value_kind:     by_value
      - .offset:         32
        .size:           4
        .value_kind:     by_value
      - .offset:         36
        .size:           4
        .value_kind:     by_value
      - .offset:         40
        .size:           4
        .value_kind:     hidden_block_count_x
      - .offset:         44
        .size:           4
        .value_kind:     hidden_block_count_y
      - .offset:         48
        .size:           4
        .value_kind:     hidden_block_count_z
      - .offset:         52
        .size:           2
        .value_kind:     hidden_group_size_x
      - .offset:         54
        .size:           2
        .value_kind:     hidden_group_size_y
      - .offset:         56
        .size:           2
        .value_kind:     hidden_group_size_z
      - .offset:         58
        .size:           2
        .value_kind:     hidden_remainder_x
      - .offset:         60
        .size:           2
        .value_kind:     hidden_remainder_y
      - .offset:         62
        .size:           2
        .value_kind:     hidden_remainder_z
      - .offset:         80
        .size:           8
        .value_kind:     hidden_global_offset_x
      - .offset:         88
        .size:           8
        .value_kind:     hidden_global_offset_y
      - .offset:         96
        .size:           8
        .value_kind:     hidden_global_offset_z
      - .offset:         104
        .size:           2
        .value_kind:     hidden_grid_dims
    .group_segment_fixed_size: 0
    .kernarg_segment_align: 8
    .kernarg_segment_size: 296
    .language:       OpenCL C
    .language_version:
      - 2
      - 0
    .max_flat_workgroup_size: 1024
    .name:           _Z34scaled_masked_softmax_warp_forwardI6__halfS0_fLi5EEvPT0_PKT_PKhT1_iii
    .private_segment_fixed_size: 0
    .sgpr_count:     21
    .sgpr_spill_count: 0
    .symbol:         _Z34scaled_masked_softmax_warp_forwardI6__halfS0_fLi5EEvPT0_PKT_PKhT1_iii.kd
    .uniform_work_group_size: 1
    .uses_dynamic_stack: false
    .vgpr_count:     17
    .vgpr_spill_count: 0
    .wavefront_size: 64
  - .args:
      - .address_space:  global
        .offset:         0
        .size:           8
        .value_kind:     global_buffer
      - .address_space:  global
        .offset:         8
        .size:           8
        .value_kind:     global_buffer
      - .address_space:  global
        .offset:         16
        .size:           8
        .value_kind:     global_buffer
      - .offset:         24
        .size:           4
        .value_kind:     by_value
      - .offset:         28
        .size:           4
        .value_kind:     by_value
      - .offset:         32
        .size:           4
        .value_kind:     by_value
      - .offset:         36
        .size:           4
        .value_kind:     by_value
      - .offset:         40
        .size:           4
        .value_kind:     hidden_block_count_x
      - .offset:         44
        .size:           4
        .value_kind:     hidden_block_count_y
      - .offset:         48
        .size:           4
        .value_kind:     hidden_block_count_z
      - .offset:         52
        .size:           2
        .value_kind:     hidden_group_size_x
      - .offset:         54
        .size:           2
        .value_kind:     hidden_group_size_y
      - .offset:         56
        .size:           2
        .value_kind:     hidden_group_size_z
      - .offset:         58
        .size:           2
        .value_kind:     hidden_remainder_x
      - .offset:         60
        .size:           2
        .value_kind:     hidden_remainder_y
      - .offset:         62
        .size:           2
        .value_kind:     hidden_remainder_z
      - .offset:         80
        .size:           8
        .value_kind:     hidden_global_offset_x
      - .offset:         88
        .size:           8
        .value_kind:     hidden_global_offset_y
      - .offset:         96
        .size:           8
        .value_kind:     hidden_global_offset_z
      - .offset:         104
        .size:           2
        .value_kind:     hidden_grid_dims
    .group_segment_fixed_size: 0
    .kernarg_segment_align: 8
    .kernarg_segment_size: 296
    .language:       OpenCL C
    .language_version:
      - 2
      - 0
    .max_flat_workgroup_size: 1024
    .name:           _Z34scaled_masked_softmax_warp_forwardI6__halfS0_fLi6EEvPT0_PKT_PKhT1_iii
    .private_segment_fixed_size: 0
    .sgpr_count:     22
    .sgpr_spill_count: 0
    .symbol:         _Z34scaled_masked_softmax_warp_forwardI6__halfS0_fLi6EEvPT0_PKT_PKhT1_iii.kd
    .uniform_work_group_size: 1
    .uses_dynamic_stack: false
    .vgpr_count:     21
    .vgpr_spill_count: 0
    .wavefront_size: 64
  - .args:
      - .address_space:  global
        .offset:         0
        .size:           8
        .value_kind:     global_buffer
      - .address_space:  global
        .offset:         8
        .size:           8
        .value_kind:     global_buffer
      - .address_space:  global
        .offset:         16
        .size:           8
        .value_kind:     global_buffer
      - .offset:         24
        .size:           4
        .value_kind:     by_value
      - .offset:         28
        .size:           4
        .value_kind:     by_value
      - .offset:         32
        .size:           4
        .value_kind:     by_value
      - .offset:         36
        .size:           4
        .value_kind:     by_value
      - .offset:         40
        .size:           4
        .value_kind:     hidden_block_count_x
      - .offset:         44
        .size:           4
        .value_kind:     hidden_block_count_y
      - .offset:         48
        .size:           4
        .value_kind:     hidden_block_count_z
      - .offset:         52
        .size:           2
        .value_kind:     hidden_group_size_x
      - .offset:         54
        .size:           2
        .value_kind:     hidden_group_size_y
      - .offset:         56
        .size:           2
        .value_kind:     hidden_group_size_z
      - .offset:         58
        .size:           2
        .value_kind:     hidden_remainder_x
      - .offset:         60
        .size:           2
        .value_kind:     hidden_remainder_y
      - .offset:         62
        .size:           2
        .value_kind:     hidden_remainder_z
      - .offset:         80
        .size:           8
        .value_kind:     hidden_global_offset_x
      - .offset:         88
        .size:           8
        .value_kind:     hidden_global_offset_y
      - .offset:         96
        .size:           8
        .value_kind:     hidden_global_offset_z
      - .offset:         104
        .size:           2
        .value_kind:     hidden_grid_dims
    .group_segment_fixed_size: 0
    .kernarg_segment_align: 8
    .kernarg_segment_size: 296
    .language:       OpenCL C
    .language_version:
      - 2
      - 0
    .max_flat_workgroup_size: 1024
    .name:           _Z34scaled_masked_softmax_warp_forwardI6__halfS0_fLi7EEvPT0_PKT_PKhT1_iii
    .private_segment_fixed_size: 0
    .sgpr_count:     22
    .sgpr_spill_count: 0
    .symbol:         _Z34scaled_masked_softmax_warp_forwardI6__halfS0_fLi7EEvPT0_PKT_PKhT1_iii.kd
    .uniform_work_group_size: 1
    .uses_dynamic_stack: false
    .vgpr_count:     26
    .vgpr_spill_count: 0
    .wavefront_size: 64
  - .args:
      - .address_space:  global
        .offset:         0
        .size:           8
        .value_kind:     global_buffer
      - .address_space:  global
        .offset:         8
        .size:           8
        .value_kind:     global_buffer
      - .address_space:  global
        .offset:         16
        .size:           8
        .value_kind:     global_buffer
      - .offset:         24
        .size:           4
        .value_kind:     by_value
      - .offset:         28
        .size:           4
        .value_kind:     by_value
      - .offset:         32
        .size:           4
        .value_kind:     by_value
      - .offset:         36
        .size:           4
        .value_kind:     by_value
      - .offset:         40
        .size:           4
        .value_kind:     hidden_block_count_x
      - .offset:         44
        .size:           4
        .value_kind:     hidden_block_count_y
      - .offset:         48
        .size:           4
        .value_kind:     hidden_block_count_z
      - .offset:         52
        .size:           2
        .value_kind:     hidden_group_size_x
      - .offset:         54
        .size:           2
        .value_kind:     hidden_group_size_y
      - .offset:         56
        .size:           2
        .value_kind:     hidden_group_size_z
      - .offset:         58
        .size:           2
        .value_kind:     hidden_remainder_x
      - .offset:         60
        .size:           2
        .value_kind:     hidden_remainder_y
      - .offset:         62
        .size:           2
        .value_kind:     hidden_remainder_z
      - .offset:         80
        .size:           8
        .value_kind:     hidden_global_offset_x
      - .offset:         88
        .size:           8
        .value_kind:     hidden_global_offset_y
      - .offset:         96
        .size:           8
        .value_kind:     hidden_global_offset_z
      - .offset:         104
        .size:           2
        .value_kind:     hidden_grid_dims
    .group_segment_fixed_size: 0
    .kernarg_segment_align: 8
    .kernarg_segment_size: 296
    .language:       OpenCL C
    .language_version:
      - 2
      - 0
    .max_flat_workgroup_size: 1024
    .name:           _Z34scaled_masked_softmax_warp_forwardI6__halfS0_fLi8EEvPT0_PKT_PKhT1_iii
    .private_segment_fixed_size: 0
    .sgpr_count:     24
    .sgpr_spill_count: 0
    .symbol:         _Z34scaled_masked_softmax_warp_forwardI6__halfS0_fLi8EEvPT0_PKT_PKhT1_iii.kd
    .uniform_work_group_size: 1
    .uses_dynamic_stack: false
    .vgpr_count:     23
    .vgpr_spill_count: 0
    .wavefront_size: 64
  - .args:
      - .address_space:  global
        .offset:         0
        .size:           8
        .value_kind:     global_buffer
      - .address_space:  global
        .offset:         8
        .size:           8
        .value_kind:     global_buffer
      - .address_space:  global
        .offset:         16
        .size:           8
        .value_kind:     global_buffer
      - .offset:         24
        .size:           4
        .value_kind:     by_value
      - .offset:         28
        .size:           4
        .value_kind:     by_value
      - .offset:         32
        .size:           4
        .value_kind:     by_value
      - .offset:         36
        .size:           4
        .value_kind:     by_value
      - .offset:         40
        .size:           4
        .value_kind:     hidden_block_count_x
      - .offset:         44
        .size:           4
        .value_kind:     hidden_block_count_y
      - .offset:         48
        .size:           4
        .value_kind:     hidden_block_count_z
      - .offset:         52
        .size:           2
        .value_kind:     hidden_group_size_x
      - .offset:         54
        .size:           2
        .value_kind:     hidden_group_size_y
      - .offset:         56
        .size:           2
        .value_kind:     hidden_group_size_z
      - .offset:         58
        .size:           2
        .value_kind:     hidden_remainder_x
      - .offset:         60
        .size:           2
        .value_kind:     hidden_remainder_y
      - .offset:         62
        .size:           2
        .value_kind:     hidden_remainder_z
      - .offset:         80
        .size:           8
        .value_kind:     hidden_global_offset_x
      - .offset:         88
        .size:           8
        .value_kind:     hidden_global_offset_y
      - .offset:         96
        .size:           8
        .value_kind:     hidden_global_offset_z
      - .offset:         104
        .size:           2
        .value_kind:     hidden_grid_dims
    .group_segment_fixed_size: 0
    .kernarg_segment_align: 8
    .kernarg_segment_size: 296
    .language:       OpenCL C
    .language_version:
      - 2
      - 0
    .max_flat_workgroup_size: 1024
    .name:           _Z34scaled_masked_softmax_warp_forwardI6__halfS0_fLi9EEvPT0_PKT_PKhT1_iii
    .private_segment_fixed_size: 0
    .sgpr_count:     68
    .sgpr_spill_count: 0
    .symbol:         _Z34scaled_masked_softmax_warp_forwardI6__halfS0_fLi9EEvPT0_PKT_PKhT1_iii.kd
    .uniform_work_group_size: 1
    .uses_dynamic_stack: false
    .vgpr_count:     33
    .vgpr_spill_count: 0
    .wavefront_size: 64
  - .args:
      - .address_space:  global
        .offset:         0
        .size:           8
        .value_kind:     global_buffer
      - .address_space:  global
        .offset:         8
        .size:           8
        .value_kind:     global_buffer
      - .address_space:  global
        .offset:         16
        .size:           8
        .value_kind:     global_buffer
      - .offset:         24
        .size:           4
        .value_kind:     by_value
      - .offset:         28
        .size:           4
        .value_kind:     by_value
      - .offset:         32
        .size:           4
        .value_kind:     by_value
      - .offset:         36
        .size:           4
        .value_kind:     by_value
      - .offset:         40
        .size:           4
        .value_kind:     hidden_block_count_x
      - .offset:         44
        .size:           4
        .value_kind:     hidden_block_count_y
      - .offset:         48
        .size:           4
        .value_kind:     hidden_block_count_z
      - .offset:         52
        .size:           2
        .value_kind:     hidden_group_size_x
      - .offset:         54
        .size:           2
        .value_kind:     hidden_group_size_y
      - .offset:         56
        .size:           2
        .value_kind:     hidden_group_size_z
      - .offset:         58
        .size:           2
        .value_kind:     hidden_remainder_x
      - .offset:         60
        .size:           2
        .value_kind:     hidden_remainder_y
      - .offset:         62
        .size:           2
        .value_kind:     hidden_remainder_z
      - .offset:         80
        .size:           8
        .value_kind:     hidden_global_offset_x
      - .offset:         88
        .size:           8
        .value_kind:     hidden_global_offset_y
      - .offset:         96
        .size:           8
        .value_kind:     hidden_global_offset_z
      - .offset:         104
        .size:           2
        .value_kind:     hidden_grid_dims
    .group_segment_fixed_size: 0
    .kernarg_segment_align: 8
    .kernarg_segment_size: 296
    .language:       OpenCL C
    .language_version:
      - 2
      - 0
    .max_flat_workgroup_size: 1024
    .name:           _Z34scaled_masked_softmax_warp_forwardI6__halfS0_fLi10EEvPT0_PKT_PKhT1_iii
    .private_segment_fixed_size: 0
    .sgpr_count:     100
    .sgpr_spill_count: 10
    .symbol:         _Z34scaled_masked_softmax_warp_forwardI6__halfS0_fLi10EEvPT0_PKT_PKhT1_iii.kd
    .uniform_work_group_size: 1
    .uses_dynamic_stack: false
    .vgpr_count:     58
    .vgpr_spill_count: 0
    .wavefront_size: 64
  - .args:
      - .address_space:  global
        .offset:         0
        .size:           8
        .value_kind:     global_buffer
      - .address_space:  global
        .offset:         8
        .size:           8
        .value_kind:     global_buffer
      - .address_space:  global
        .offset:         16
        .size:           8
        .value_kind:     global_buffer
      - .offset:         24
        .size:           4
        .value_kind:     by_value
      - .offset:         28
        .size:           4
        .value_kind:     by_value
      - .offset:         32
        .size:           4
        .value_kind:     by_value
      - .offset:         36
        .size:           4
        .value_kind:     by_value
      - .offset:         40
        .size:           4
        .value_kind:     hidden_block_count_x
      - .offset:         44
        .size:           4
        .value_kind:     hidden_block_count_y
      - .offset:         48
        .size:           4
        .value_kind:     hidden_block_count_z
      - .offset:         52
        .size:           2
        .value_kind:     hidden_group_size_x
      - .offset:         54
        .size:           2
        .value_kind:     hidden_group_size_y
      - .offset:         56
        .size:           2
        .value_kind:     hidden_group_size_z
      - .offset:         58
        .size:           2
        .value_kind:     hidden_remainder_x
      - .offset:         60
        .size:           2
        .value_kind:     hidden_remainder_y
      - .offset:         62
        .size:           2
        .value_kind:     hidden_remainder_z
      - .offset:         80
        .size:           8
        .value_kind:     hidden_global_offset_x
      - .offset:         88
        .size:           8
        .value_kind:     hidden_global_offset_y
      - .offset:         96
        .size:           8
        .value_kind:     hidden_global_offset_z
      - .offset:         104
        .size:           2
        .value_kind:     hidden_grid_dims
    .group_segment_fixed_size: 0
    .kernarg_segment_align: 8
    .kernarg_segment_size: 296
    .language:       OpenCL C
    .language_version:
      - 2
      - 0
    .max_flat_workgroup_size: 1024
    .name:           _Z34scaled_masked_softmax_warp_forwardI14__hip_bfloat16S0_fLi0EEvPT0_PKT_PKhT1_iii
    .private_segment_fixed_size: 0
    .sgpr_count:     20
    .sgpr_spill_count: 0
    .symbol:         _Z34scaled_masked_softmax_warp_forwardI14__hip_bfloat16S0_fLi0EEvPT0_PKT_PKhT1_iii.kd
    .uniform_work_group_size: 1
    .uses_dynamic_stack: false
    .vgpr_count:     12
    .vgpr_spill_count: 0
    .wavefront_size: 64
  - .args:
      - .address_space:  global
        .offset:         0
        .size:           8
        .value_kind:     global_buffer
      - .address_space:  global
        .offset:         8
        .size:           8
        .value_kind:     global_buffer
      - .address_space:  global
        .offset:         16
        .size:           8
        .value_kind:     global_buffer
      - .offset:         24
        .size:           4
        .value_kind:     by_value
      - .offset:         28
        .size:           4
        .value_kind:     by_value
      - .offset:         32
        .size:           4
        .value_kind:     by_value
      - .offset:         36
        .size:           4
        .value_kind:     by_value
      - .offset:         40
        .size:           4
        .value_kind:     hidden_block_count_x
      - .offset:         44
        .size:           4
        .value_kind:     hidden_block_count_y
      - .offset:         48
        .size:           4
        .value_kind:     hidden_block_count_z
      - .offset:         52
        .size:           2
        .value_kind:     hidden_group_size_x
      - .offset:         54
        .size:           2
        .value_kind:     hidden_group_size_y
      - .offset:         56
        .size:           2
        .value_kind:     hidden_group_size_z
      - .offset:         58
        .size:           2
        .value_kind:     hidden_remainder_x
      - .offset:         60
        .size:           2
        .value_kind:     hidden_remainder_y
      - .offset:         62
        .size:           2
        .value_kind:     hidden_remainder_z
      - .offset:         80
        .size:           8
        .value_kind:     hidden_global_offset_x
      - .offset:         88
        .size:           8
        .value_kind:     hidden_global_offset_y
      - .offset:         96
        .size:           8
        .value_kind:     hidden_global_offset_z
      - .offset:         104
        .size:           2
        .value_kind:     hidden_grid_dims
    .group_segment_fixed_size: 0
    .kernarg_segment_align: 8
    .kernarg_segment_size: 296
    .language:       OpenCL C
    .language_version:
      - 2
      - 0
    .max_flat_workgroup_size: 1024
    .name:           _Z34scaled_masked_softmax_warp_forwardI14__hip_bfloat16S0_fLi1EEvPT0_PKT_PKhT1_iii
    .private_segment_fixed_size: 0
    .sgpr_count:     21
    .sgpr_spill_count: 0
    .symbol:         _Z34scaled_masked_softmax_warp_forwardI14__hip_bfloat16S0_fLi1EEvPT0_PKT_PKhT1_iii.kd
    .uniform_work_group_size: 1
    .uses_dynamic_stack: false
    .vgpr_count:     14
    .vgpr_spill_count: 0
    .wavefront_size: 64
  - .args:
      - .address_space:  global
        .offset:         0
        .size:           8
        .value_kind:     global_buffer
      - .address_space:  global
        .offset:         8
        .size:           8
        .value_kind:     global_buffer
      - .address_space:  global
        .offset:         16
        .size:           8
        .value_kind:     global_buffer
      - .offset:         24
        .size:           4
        .value_kind:     by_value
      - .offset:         28
        .size:           4
        .value_kind:     by_value
      - .offset:         32
        .size:           4
        .value_kind:     by_value
      - .offset:         36
        .size:           4
        .value_kind:     by_value
      - .offset:         40
        .size:           4
        .value_kind:     hidden_block_count_x
      - .offset:         44
        .size:           4
        .value_kind:     hidden_block_count_y
      - .offset:         48
        .size:           4
        .value_kind:     hidden_block_count_z
      - .offset:         52
        .size:           2
        .value_kind:     hidden_group_size_x
      - .offset:         54
        .size:           2
        .value_kind:     hidden_group_size_y
      - .offset:         56
        .size:           2
        .value_kind:     hidden_group_size_z
      - .offset:         58
        .size:           2
        .value_kind:     hidden_remainder_x
      - .offset:         60
        .size:           2
        .value_kind:     hidden_remainder_y
      - .offset:         62
        .size:           2
        .value_kind:     hidden_remainder_z
      - .offset:         80
        .size:           8
        .value_kind:     hidden_global_offset_x
      - .offset:         88
        .size:           8
        .value_kind:     hidden_global_offset_y
      - .offset:         96
        .size:           8
        .value_kind:     hidden_global_offset_z
      - .offset:         104
        .size:           2
        .value_kind:     hidden_grid_dims
    .group_segment_fixed_size: 0
    .kernarg_segment_align: 8
    .kernarg_segment_size: 296
    .language:       OpenCL C
    .language_version:
      - 2
      - 0
    .max_flat_workgroup_size: 1024
    .name:           _Z34scaled_masked_softmax_warp_forwardI14__hip_bfloat16S0_fLi2EEvPT0_PKT_PKhT1_iii
    .private_segment_fixed_size: 0
    .sgpr_count:     21
    .sgpr_spill_count: 0
    .symbol:         _Z34scaled_masked_softmax_warp_forwardI14__hip_bfloat16S0_fLi2EEvPT0_PKT_PKhT1_iii.kd
    .uniform_work_group_size: 1
    .uses_dynamic_stack: false
    .vgpr_count:     15
    .vgpr_spill_count: 0
    .wavefront_size: 64
  - .args:
      - .address_space:  global
        .offset:         0
        .size:           8
        .value_kind:     global_buffer
      - .address_space:  global
        .offset:         8
        .size:           8
        .value_kind:     global_buffer
      - .address_space:  global
        .offset:         16
        .size:           8
        .value_kind:     global_buffer
      - .offset:         24
        .size:           4
        .value_kind:     by_value
      - .offset:         28
        .size:           4
        .value_kind:     by_value
      - .offset:         32
        .size:           4
        .value_kind:     by_value
      - .offset:         36
        .size:           4
        .value_kind:     by_value
      - .offset:         40
        .size:           4
        .value_kind:     hidden_block_count_x
      - .offset:         44
        .size:           4
        .value_kind:     hidden_block_count_y
      - .offset:         48
        .size:           4
        .value_kind:     hidden_block_count_z
      - .offset:         52
        .size:           2
        .value_kind:     hidden_group_size_x
      - .offset:         54
        .size:           2
        .value_kind:     hidden_group_size_y
      - .offset:         56
        .size:           2
        .value_kind:     hidden_group_size_z
      - .offset:         58
        .size:           2
        .value_kind:     hidden_remainder_x
      - .offset:         60
        .size:           2
        .value_kind:     hidden_remainder_y
      - .offset:         62
        .size:           2
        .value_kind:     hidden_remainder_z
      - .offset:         80
        .size:           8
        .value_kind:     hidden_global_offset_x
      - .offset:         88
        .size:           8
        .value_kind:     hidden_global_offset_y
      - .offset:         96
        .size:           8
        .value_kind:     hidden_global_offset_z
      - .offset:         104
        .size:           2
        .value_kind:     hidden_grid_dims
    .group_segment_fixed_size: 0
    .kernarg_segment_align: 8
    .kernarg_segment_size: 296
    .language:       OpenCL C
    .language_version:
      - 2
      - 0
    .max_flat_workgroup_size: 1024
    .name:           _Z34scaled_masked_softmax_warp_forwardI14__hip_bfloat16S0_fLi3EEvPT0_PKT_PKhT1_iii
    .private_segment_fixed_size: 0
    .sgpr_count:     21
    .sgpr_spill_count: 0
    .symbol:         _Z34scaled_masked_softmax_warp_forwardI14__hip_bfloat16S0_fLi3EEvPT0_PKT_PKhT1_iii.kd
    .uniform_work_group_size: 1
    .uses_dynamic_stack: false
    .vgpr_count:     16
    .vgpr_spill_count: 0
    .wavefront_size: 64
  - .args:
      - .address_space:  global
        .offset:         0
        .size:           8
        .value_kind:     global_buffer
      - .address_space:  global
        .offset:         8
        .size:           8
        .value_kind:     global_buffer
      - .address_space:  global
        .offset:         16
        .size:           8
        .value_kind:     global_buffer
      - .offset:         24
        .size:           4
        .value_kind:     by_value
      - .offset:         28
        .size:           4
        .value_kind:     by_value
      - .offset:         32
        .size:           4
        .value_kind:     by_value
      - .offset:         36
        .size:           4
        .value_kind:     by_value
      - .offset:         40
        .size:           4
        .value_kind:     hidden_block_count_x
      - .offset:         44
        .size:           4
        .value_kind:     hidden_block_count_y
      - .offset:         48
        .size:           4
        .value_kind:     hidden_block_count_z
      - .offset:         52
        .size:           2
        .value_kind:     hidden_group_size_x
      - .offset:         54
        .size:           2
        .value_kind:     hidden_group_size_y
      - .offset:         56
        .size:           2
        .value_kind:     hidden_group_size_z
      - .offset:         58
        .size:           2
        .value_kind:     hidden_remainder_x
      - .offset:         60
        .size:           2
        .value_kind:     hidden_remainder_y
      - .offset:         62
        .size:           2
        .value_kind:     hidden_remainder_z
      - .offset:         80
        .size:           8
        .value_kind:     hidden_global_offset_x
      - .offset:         88
        .size:           8
        .value_kind:     hidden_global_offset_y
      - .offset:         96
        .size:           8
        .value_kind:     hidden_global_offset_z
      - .offset:         104
        .size:           2
        .value_kind:     hidden_grid_dims
    .group_segment_fixed_size: 0
    .kernarg_segment_align: 8
    .kernarg_segment_size: 296
    .language:       OpenCL C
    .language_version:
      - 2
      - 0
    .max_flat_workgroup_size: 1024
    .name:           _Z34scaled_masked_softmax_warp_forwardI14__hip_bfloat16S0_fLi4EEvPT0_PKT_PKhT1_iii
    .private_segment_fixed_size: 0
    .sgpr_count:     21
    .sgpr_spill_count: 0
    .symbol:         _Z34scaled_masked_softmax_warp_forwardI14__hip_bfloat16S0_fLi4EEvPT0_PKT_PKhT1_iii.kd
    .uniform_work_group_size: 1
    .uses_dynamic_stack: false
    .vgpr_count:     17
    .vgpr_spill_count: 0
    .wavefront_size: 64
  - .args:
      - .address_space:  global
        .offset:         0
        .size:           8
        .value_kind:     global_buffer
      - .address_space:  global
        .offset:         8
        .size:           8
        .value_kind:     global_buffer
      - .address_space:  global
        .offset:         16
        .size:           8
        .value_kind:     global_buffer
      - .offset:         24
        .size:           4
        .value_kind:     by_value
      - .offset:         28
        .size:           4
        .value_kind:     by_value
      - .offset:         32
        .size:           4
        .value_kind:     by_value
      - .offset:         36
        .size:           4
        .value_kind:     by_value
      - .offset:         40
        .size:           4
        .value_kind:     hidden_block_count_x
      - .offset:         44
        .size:           4
        .value_kind:     hidden_block_count_y
      - .offset:         48
        .size:           4
        .value_kind:     hidden_block_count_z
      - .offset:         52
        .size:           2
        .value_kind:     hidden_group_size_x
      - .offset:         54
        .size:           2
        .value_kind:     hidden_group_size_y
      - .offset:         56
        .size:           2
        .value_kind:     hidden_group_size_z
      - .offset:         58
        .size:           2
        .value_kind:     hidden_remainder_x
      - .offset:         60
        .size:           2
        .value_kind:     hidden_remainder_y
      - .offset:         62
        .size:           2
        .value_kind:     hidden_remainder_z
      - .offset:         80
        .size:           8
        .value_kind:     hidden_global_offset_x
      - .offset:         88
        .size:           8
        .value_kind:     hidden_global_offset_y
      - .offset:         96
        .size:           8
        .value_kind:     hidden_global_offset_z
      - .offset:         104
        .size:           2
        .value_kind:     hidden_grid_dims
    .group_segment_fixed_size: 0
    .kernarg_segment_align: 8
    .kernarg_segment_size: 296
    .language:       OpenCL C
    .language_version:
      - 2
      - 0
    .max_flat_workgroup_size: 1024
    .name:           _Z34scaled_masked_softmax_warp_forwardI14__hip_bfloat16S0_fLi5EEvPT0_PKT_PKhT1_iii
    .private_segment_fixed_size: 0
    .sgpr_count:     21
    .sgpr_spill_count: 0
    .symbol:         _Z34scaled_masked_softmax_warp_forwardI14__hip_bfloat16S0_fLi5EEvPT0_PKT_PKhT1_iii.kd
    .uniform_work_group_size: 1
    .uses_dynamic_stack: false
    .vgpr_count:     17
    .vgpr_spill_count: 0
    .wavefront_size: 64
  - .args:
      - .address_space:  global
        .offset:         0
        .size:           8
        .value_kind:     global_buffer
      - .address_space:  global
        .offset:         8
        .size:           8
        .value_kind:     global_buffer
      - .address_space:  global
        .offset:         16
        .size:           8
        .value_kind:     global_buffer
      - .offset:         24
        .size:           4
        .value_kind:     by_value
      - .offset:         28
        .size:           4
        .value_kind:     by_value
      - .offset:         32
        .size:           4
        .value_kind:     by_value
      - .offset:         36
        .size:           4
        .value_kind:     by_value
      - .offset:         40
        .size:           4
        .value_kind:     hidden_block_count_x
      - .offset:         44
        .size:           4
        .value_kind:     hidden_block_count_y
      - .offset:         48
        .size:           4
        .value_kind:     hidden_block_count_z
      - .offset:         52
        .size:           2
        .value_kind:     hidden_group_size_x
      - .offset:         54
        .size:           2
        .value_kind:     hidden_group_size_y
      - .offset:         56
        .size:           2
        .value_kind:     hidden_group_size_z
      - .offset:         58
        .size:           2
        .value_kind:     hidden_remainder_x
      - .offset:         60
        .size:           2
        .value_kind:     hidden_remainder_y
      - .offset:         62
        .size:           2
        .value_kind:     hidden_remainder_z
      - .offset:         80
        .size:           8
        .value_kind:     hidden_global_offset_x
      - .offset:         88
        .size:           8
        .value_kind:     hidden_global_offset_y
      - .offset:         96
        .size:           8
        .value_kind:     hidden_global_offset_z
      - .offset:         104
        .size:           2
        .value_kind:     hidden_grid_dims
    .group_segment_fixed_size: 0
    .kernarg_segment_align: 8
    .kernarg_segment_size: 296
    .language:       OpenCL C
    .language_version:
      - 2
      - 0
    .max_flat_workgroup_size: 1024
    .name:           _Z34scaled_masked_softmax_warp_forwardI14__hip_bfloat16S0_fLi6EEvPT0_PKT_PKhT1_iii
    .private_segment_fixed_size: 0
    .sgpr_count:     22
    .sgpr_spill_count: 0
    .symbol:         _Z34scaled_masked_softmax_warp_forwardI14__hip_bfloat16S0_fLi6EEvPT0_PKT_PKhT1_iii.kd
    .uniform_work_group_size: 1
    .uses_dynamic_stack: false
    .vgpr_count:     21
    .vgpr_spill_count: 0
    .wavefront_size: 64
  - .args:
      - .address_space:  global
        .offset:         0
        .size:           8
        .value_kind:     global_buffer
      - .address_space:  global
        .offset:         8
        .size:           8
        .value_kind:     global_buffer
      - .address_space:  global
        .offset:         16
        .size:           8
        .value_kind:     global_buffer
      - .offset:         24
        .size:           4
        .value_kind:     by_value
      - .offset:         28
        .size:           4
        .value_kind:     by_value
      - .offset:         32
        .size:           4
        .value_kind:     by_value
      - .offset:         36
        .size:           4
        .value_kind:     by_value
      - .offset:         40
        .size:           4
        .value_kind:     hidden_block_count_x
      - .offset:         44
        .size:           4
        .value_kind:     hidden_block_count_y
      - .offset:         48
        .size:           4
        .value_kind:     hidden_block_count_z
      - .offset:         52
        .size:           2
        .value_kind:     hidden_group_size_x
      - .offset:         54
        .size:           2
        .value_kind:     hidden_group_size_y
      - .offset:         56
        .size:           2
        .value_kind:     hidden_group_size_z
      - .offset:         58
        .size:           2
        .value_kind:     hidden_remainder_x
      - .offset:         60
        .size:           2
        .value_kind:     hidden_remainder_y
      - .offset:         62
        .size:           2
        .value_kind:     hidden_remainder_z
      - .offset:         80
        .size:           8
        .value_kind:     hidden_global_offset_x
      - .offset:         88
        .size:           8
        .value_kind:     hidden_global_offset_y
      - .offset:         96
        .size:           8
        .value_kind:     hidden_global_offset_z
      - .offset:         104
        .size:           2
        .value_kind:     hidden_grid_dims
    .group_segment_fixed_size: 0
    .kernarg_segment_align: 8
    .kernarg_segment_size: 296
    .language:       OpenCL C
    .language_version:
      - 2
      - 0
    .max_flat_workgroup_size: 1024
    .name:           _Z34scaled_masked_softmax_warp_forwardI14__hip_bfloat16S0_fLi7EEvPT0_PKT_PKhT1_iii
    .private_segment_fixed_size: 0
    .sgpr_count:     22
    .sgpr_spill_count: 0
    .symbol:         _Z34scaled_masked_softmax_warp_forwardI14__hip_bfloat16S0_fLi7EEvPT0_PKT_PKhT1_iii.kd
    .uniform_work_group_size: 1
    .uses_dynamic_stack: false
    .vgpr_count:     26
    .vgpr_spill_count: 0
    .wavefront_size: 64
  - .args:
      - .address_space:  global
        .offset:         0
        .size:           8
        .value_kind:     global_buffer
      - .address_space:  global
        .offset:         8
        .size:           8
        .value_kind:     global_buffer
      - .address_space:  global
        .offset:         16
        .size:           8
        .value_kind:     global_buffer
      - .offset:         24
        .size:           4
        .value_kind:     by_value
      - .offset:         28
        .size:           4
        .value_kind:     by_value
      - .offset:         32
        .size:           4
        .value_kind:     by_value
      - .offset:         36
        .size:           4
        .value_kind:     by_value
      - .offset:         40
        .size:           4
        .value_kind:     hidden_block_count_x
      - .offset:         44
        .size:           4
        .value_kind:     hidden_block_count_y
      - .offset:         48
        .size:           4
        .value_kind:     hidden_block_count_z
      - .offset:         52
        .size:           2
        .value_kind:     hidden_group_size_x
      - .offset:         54
        .size:           2
        .value_kind:     hidden_group_size_y
      - .offset:         56
        .size:           2
        .value_kind:     hidden_group_size_z
      - .offset:         58
        .size:           2
        .value_kind:     hidden_remainder_x
      - .offset:         60
        .size:           2
        .value_kind:     hidden_remainder_y
      - .offset:         62
        .size:           2
        .value_kind:     hidden_remainder_z
      - .offset:         80
        .size:           8
        .value_kind:     hidden_global_offset_x
      - .offset:         88
        .size:           8
        .value_kind:     hidden_global_offset_y
      - .offset:         96
        .size:           8
        .value_kind:     hidden_global_offset_z
      - .offset:         104
        .size:           2
        .value_kind:     hidden_grid_dims
    .group_segment_fixed_size: 0
    .kernarg_segment_align: 8
    .kernarg_segment_size: 296
    .language:       OpenCL C
    .language_version:
      - 2
      - 0
    .max_flat_workgroup_size: 1024
    .name:           _Z34scaled_masked_softmax_warp_forwardI14__hip_bfloat16S0_fLi8EEvPT0_PKT_PKhT1_iii
    .private_segment_fixed_size: 0
    .sgpr_count:     24
    .sgpr_spill_count: 0
    .symbol:         _Z34scaled_masked_softmax_warp_forwardI14__hip_bfloat16S0_fLi8EEvPT0_PKT_PKhT1_iii.kd
    .uniform_work_group_size: 1
    .uses_dynamic_stack: false
    .vgpr_count:     24
    .vgpr_spill_count: 0
    .wavefront_size: 64
  - .args:
      - .address_space:  global
        .offset:         0
        .size:           8
        .value_kind:     global_buffer
      - .address_space:  global
        .offset:         8
        .size:           8
        .value_kind:     global_buffer
      - .address_space:  global
        .offset:         16
        .size:           8
        .value_kind:     global_buffer
      - .offset:         24
        .size:           4
        .value_kind:     by_value
      - .offset:         28
        .size:           4
        .value_kind:     by_value
      - .offset:         32
        .size:           4
        .value_kind:     by_value
      - .offset:         36
        .size:           4
        .value_kind:     by_value
      - .offset:         40
        .size:           4
        .value_kind:     hidden_block_count_x
      - .offset:         44
        .size:           4
        .value_kind:     hidden_block_count_y
      - .offset:         48
        .size:           4
        .value_kind:     hidden_block_count_z
      - .offset:         52
        .size:           2
        .value_kind:     hidden_group_size_x
      - .offset:         54
        .size:           2
        .value_kind:     hidden_group_size_y
      - .offset:         56
        .size:           2
        .value_kind:     hidden_group_size_z
      - .offset:         58
        .size:           2
        .value_kind:     hidden_remainder_x
      - .offset:         60
        .size:           2
        .value_kind:     hidden_remainder_y
      - .offset:         62
        .size:           2
        .value_kind:     hidden_remainder_z
      - .offset:         80
        .size:           8
        .value_kind:     hidden_global_offset_x
      - .offset:         88
        .size:           8
        .value_kind:     hidden_global_offset_y
      - .offset:         96
        .size:           8
        .value_kind:     hidden_global_offset_z
      - .offset:         104
        .size:           2
        .value_kind:     hidden_grid_dims
    .group_segment_fixed_size: 0
    .kernarg_segment_align: 8
    .kernarg_segment_size: 296
    .language:       OpenCL C
    .language_version:
      - 2
      - 0
    .max_flat_workgroup_size: 1024
    .name:           _Z34scaled_masked_softmax_warp_forwardI14__hip_bfloat16S0_fLi9EEvPT0_PKT_PKhT1_iii
    .private_segment_fixed_size: 0
    .sgpr_count:     68
    .sgpr_spill_count: 0
    .symbol:         _Z34scaled_masked_softmax_warp_forwardI14__hip_bfloat16S0_fLi9EEvPT0_PKT_PKhT1_iii.kd
    .uniform_work_group_size: 1
    .uses_dynamic_stack: false
    .vgpr_count:     33
    .vgpr_spill_count: 0
    .wavefront_size: 64
  - .args:
      - .address_space:  global
        .offset:         0
        .size:           8
        .value_kind:     global_buffer
      - .address_space:  global
        .offset:         8
        .size:           8
        .value_kind:     global_buffer
      - .address_space:  global
        .offset:         16
        .size:           8
        .value_kind:     global_buffer
      - .offset:         24
        .size:           4
        .value_kind:     by_value
      - .offset:         28
        .size:           4
        .value_kind:     by_value
      - .offset:         32
        .size:           4
        .value_kind:     by_value
      - .offset:         36
        .size:           4
        .value_kind:     by_value
      - .offset:         40
        .size:           4
        .value_kind:     hidden_block_count_x
      - .offset:         44
        .size:           4
        .value_kind:     hidden_block_count_y
      - .offset:         48
        .size:           4
        .value_kind:     hidden_block_count_z
      - .offset:         52
        .size:           2
        .value_kind:     hidden_group_size_x
      - .offset:         54
        .size:           2
        .value_kind:     hidden_group_size_y
      - .offset:         56
        .size:           2
        .value_kind:     hidden_group_size_z
      - .offset:         58
        .size:           2
        .value_kind:     hidden_remainder_x
      - .offset:         60
        .size:           2
        .value_kind:     hidden_remainder_y
      - .offset:         62
        .size:           2
        .value_kind:     hidden_remainder_z
      - .offset:         80
        .size:           8
        .value_kind:     hidden_global_offset_x
      - .offset:         88
        .size:           8
        .value_kind:     hidden_global_offset_y
      - .offset:         96
        .size:           8
        .value_kind:     hidden_global_offset_z
      - .offset:         104
        .size:           2
        .value_kind:     hidden_grid_dims
    .group_segment_fixed_size: 0
    .kernarg_segment_align: 8
    .kernarg_segment_size: 296
    .language:       OpenCL C
    .language_version:
      - 2
      - 0
    .max_flat_workgroup_size: 1024
    .name:           _Z34scaled_masked_softmax_warp_forwardI14__hip_bfloat16S0_fLi10EEvPT0_PKT_PKhT1_iii
    .private_segment_fixed_size: 0
    .sgpr_count:     100
    .sgpr_spill_count: 10
    .symbol:         _Z34scaled_masked_softmax_warp_forwardI14__hip_bfloat16S0_fLi10EEvPT0_PKT_PKhT1_iii.kd
    .uniform_work_group_size: 1
    .uses_dynamic_stack: false
    .vgpr_count:     57
    .vgpr_spill_count: 0
    .wavefront_size: 64
amdhsa.target:   amdgcn-amd-amdhsa--gfx906
amdhsa.version:
  - 1
  - 2
...

	.end_amdgpu_metadata
